;; amdgpu-corpus repo=ROCm/aiter kind=harvested arch=n/a opt=n/a

/root/src/amdgpu-assembly/repos/ROCm__aiter/hsa/gfx950/fmha_v3_fwd/fwd_hd128_bf16_group.co:	file format elf64-amdgpu

Disassembly of section .text:

0000000000003300 <_ZN5aiter25fmha_fwd_hd128_bf16_groupE>:
	s_and_b32 s1, s1, 0xffff                                   // 000000003300: 8601FF01 0000FFFF
	s_load_dwordx2 s[20:21], s[0:1], 0x0                       // 000000003308: C0060500 00000000
	s_load_dwordx2 s[8:9], s[0:1], 0x10                        // 000000003310: C0060200 00000010
	s_load_dwordx2 s[12:13], s[0:1], 0x20                      // 000000003318: C0060300 00000020
	s_load_dwordx2 s[16:17], s[0:1], 0x30                      // 000000003320: C0060400 00000030
	s_load_dwordx2 s[24:25], s[0:1], 0x40                      // 000000003328: C0060600 00000040
	s_load_dword s28, s[0:1], 0x50                             // 000000003330: C0020700 00000050
	s_load_dword s30, s[0:1], 0x60                             // 000000003338: C0020780 00000060
	s_load_dword s50, s[0:1], 0x70                             // 000000003340: C0020C80 00000070
	s_load_dword s31, s[0:1], 0x80                             // 000000003348: C00207C0 00000080
	s_load_dword s32, s[0:1], 0x90                             // 000000003350: C0020800 00000090
	s_load_dword s33, s[0:1], 0xa0                             // 000000003358: C0020840 000000A0
	s_load_dword s46, s[0:1], 0xb0                             // 000000003360: C0020B80 000000B0
	s_load_dword s47, s[0:1], 0xc0                             // 000000003368: C0020BC0 000000C0
	s_load_dword s48, s[0:1], 0xd0                             // 000000003370: C0020C00 000000D0
	s_load_dword s49, s[0:1], 0xe0                             // 000000003378: C0020C40 000000E0
	s_load_dword s55, s[0:1], 0xf0                             // 000000003380: C0020DC0 000000F0
	s_load_dword s56, s[0:1], 0x100                            // 000000003388: C0020E00 00000100
	s_load_dword s7, s[0:1], 0x110                             // 000000003390: C00201C0 00000110
	s_load_dword s90, s[0:1], 0x140                            // 000000003398: C0021680 00000140
	s_load_dword s76, s[0:1], 0x150                            // 0000000033A0: C0021300 00000150
	s_load_dword s77, s[0:1], 0x160                            // 0000000033A8: C0021340 00000160
	s_load_dword s78, s[0:1], 0x170                            // 0000000033B0: C0021380 00000170
	s_load_dword s79, s[0:1], 0x180                            // 0000000033B8: C00213C0 00000180
	s_load_dword s80, s[0:1], 0x190                            // 0000000033C0: C0021400 00000190
	s_load_dword s81, s[0:1], 0x1a0                            // 0000000033C8: C0021440 000001A0
	s_load_dwordx2 s[72:73], s[0:1], 0x1b0                     // 0000000033D0: C0061200 000001B0
	s_load_dwordx2 s[74:75], s[0:1], 0x1c0                     // 0000000033D8: C0061280 000001C0
	s_load_dword s82, s[0:1], 0x1d0                            // 0000000033E0: C0021480 000001D0
	s_load_dwordx2 s[84:85], s[0:1], 0x1e0                     // 0000000033E8: C0061500 000001E0
	s_load_dwordx2 s[86:87], s[0:1], 0x1f0                     // 0000000033F0: C0061580 000001F0
	v_lshrrev_b32_e32 v1, 10, v0                               // 0000000033F8: 2002008A
	v_lshrrev_b32_e32 v2, 10, v1                               // 0000000033FC: 2004028A
	v_and_b32_e32 v2, 0x3ff, v2                                // 000000003400: 260404FF 000003FF
	v_and_b32_e32 v1, 0x3ff, v1                                // 000000003408: 260202FF 000003FF
	v_and_b32_e32 v0, 0x3ff, v0                                // 000000003410: 260000FF 000003FF
	v_lshrrev_b32_e32 v3, 6, v0                                // 000000003418: 20060086
	v_and_b32_e32 v0, 63, v0                                   // 00000000341C: 260000BF
	s_mov_b32 s2, s2                                           // 000000003420: BE820002
	s_mov_b32 s3, s3                                           // 000000003424: BE830003
	s_mov_b32 s4, s4                                           // 000000003428: BE840004
	v_readfirstlane_b32 s5, v3                                 // 00000000342C: 7E0A0503
	s_waitcnt lgkmcnt(0)                                       // 000000003430: BF8CC07F
	s_and_b32 s55, s55, 1                                      // 000000003434: 86378137
	s_nop 1                                                    // 000000003438: BF800001
	s_and_b32 s73, s73, 0xffff                                 // 00000000343C: 8649FF49 0000FFFF
	s_and_b32 s75, s75, 0xffff                                 // 000000003444: 864BFF4B 0000FFFF
	s_and_b32 s85, s85, 0xffff                                 // 00000000344C: 8655FF55 0000FFFF
	s_and_b32 s87, s87, 0xffff                                 // 000000003454: 8657FF57 0000FFFF
	s_mul_i32 s40, s3, 4                                       // 00000000345C: 92288403
	s_load_dword s88, s[84:85], s40                            // 000000003460: C000162A 00000028
	s_load_dword s89, s[86:87], s40                            // 000000003468: C000166B 00000028
	s_load_dword s41, s[72:73], s40                            // 000000003470: C0000A64 00000028
	s_load_dword s42, s[74:75], s40                            // 000000003478: C0000AA5 00000028
	s_add_u32 s40, s40, 4                                      // 000000003480: 80288428
	s_load_dword s57, s[72:73], s40                            // 000000003484: C0000E64 00000028
	s_load_dword s58, s[74:75], s40                            // 00000000348C: C0000EA5 00000028
	s_waitcnt lgkmcnt(0)                                       // 000000003494: BF8CC07F
	s_sub_u32 s30, s57, s41                                    // 000000003498: 809E2939
	s_sub_u32 s7, s58, s42                                     // 00000000349C: 80872A3A
	s_add_i32 s40, s30, 0xff                                   // 0000000034A0: 8128FF1E 000000FF
	s_lshr_b32 s40, s40, 8                                     // 0000000034A8: 8F288828
	s_cmp_lt_i32 s4, s40                                       // 0000000034AC: BF042804
	s_cbranch_scc0 label_1022                                  // 0000000034B0: BF840FB5
	s_mul_i32 s40, s30, s50                                    // 0000000034B4: 9228321E
	s_mov_b32 s10, s40                                         // 0000000034B8: BE8A0028
	s_mul_i32 s40, s30, s79                                    // 0000000034BC: 92284F1E
	s_mov_b32 s22, s40                                         // 0000000034C0: BE960028
	s_mul_i32 s40, s7, s47                                     // 0000000034C4: 92282F07
	s_mov_b32 s14, s40                                         // 0000000034C8: BE8E0028
	s_mul_i32 s40, s7, s76                                     // 0000000034CC: 92284C07
	s_mov_b32 s18, s40                                         // 0000000034D0: BE920028
	s_mul_i32 s40, s30, 4                                      // 0000000034D4: 9228841E
	s_mov_b32 s26, s40                                         // 0000000034D8: BE9A0028
	s_mov_b32 s23, 0x20000                                     // 0000000034DC: BE9700FF 00020000
	s_mov_b32 s11, 0x20000                                     // 0000000034E4: BE8B00FF 00020000
	s_mov_b32 s15, 0x20000                                     // 0000000034EC: BE8F00FF 00020000
	s_mov_b32 s19, 0x20000                                     // 0000000034F4: BE9300FF 00020000
	s_mov_b32 s27, 0x20000                                     // 0000000034FC: BE9B00FF 00020000
	s_and_b32 s21, s21, 0xffff                                 // 000000003504: 8615FF15 0000FFFF
	s_and_b32 s9, s9, 0xffff                                   // 00000000350C: 8609FF09 0000FFFF
	s_and_b32 s13, s13, 0xffff                                 // 000000003514: 860DFF0D 0000FFFF
	s_and_b32 s17, s17, 0xffff                                 // 00000000351C: 8611FF11 0000FFFF
	s_and_b32 s25, s25, 0xffff                                 // 000000003524: 8619FF19 0000FFFF
	s_nop 0                                                    // 00000000352C: BF800000
	s_nop 0                                                    // 000000003530: BF800000
	s_mov_b32 s60, s2                                          // 000000003534: BEBC0002
	s_mov_b32 s61, s46                                         // 000000003538: BEBD002E
	v_cvt_f32_u32_e32 v12, s61                                 // 00000000353C: 7E180C3D
	s_sub_i32 s40, 0, s61                                      // 000000003540: 81A83D80
	v_rcp_iflag_f32_e32 v12, v12                               // 000000003544: 7E18470C
	s_nop 0                                                    // 000000003548: BF800000
	v_mul_f32_e32 v12, 0x4f7ffffe, v12                         // 00000000354C: 0A1818FF 4F7FFFFE
	v_cvt_u32_f32_e32 v12, v12                                 // 000000003554: 7E180F0C
	v_mul_lo_u32 v13, s40, v12                                 // 000000003558: D285000D 00021828
	v_mul_hi_u32 v13, v12, v13                                 // 000000003560: D286000D 00021B0C
	v_add_u32_e32 v12, v12, v13                                // 000000003568: 68181B0C
	v_mul_hi_u32 v12, s60, v12                                 // 00000000356C: D286000C 0002183C
	v_mul_lo_u32 v13, v12, s61                                 // 000000003574: D285000D 00007B0C
	v_sub_u32_e32 v15, s60, v13                                // 00000000357C: 6A1E1A3C
	v_add_u32_e32 v14, 1, v12                                  // 000000003580: 681C1881
	v_cmp_le_u32_e32 vcc, s61, v15                             // 000000003584: 7D961E3D
	v_subrev_u32_e32 v13, s61, v15                             // 000000003588: 6C1A1E3D
	s_nop 0                                                    // 00000000358C: BF800000
	v_cndmask_b32_e32 v12, v12, v14, vcc                       // 000000003590: 00181D0C
	v_cndmask_b32_e32 v15, v15, v13, vcc                       // 000000003594: 001E1B0F
	v_add_u32_e32 v13, 1, v12                                  // 000000003598: 681A1881
	v_cmp_le_u32_e32 vcc, s61, v15                             // 00000000359C: 7D961E3D
	s_nop 1                                                    // 0000000035A0: BF800001
	v_cndmask_b32_e32 v15, v12, v13, vcc                       // 0000000035A4: 001E1B0C
	s_nop 3                                                    // 0000000035A8: BF800003
	v_readfirstlane_b32 s62, v15                               // 0000000035AC: 7E7C050F
	s_nop 3                                                    // 0000000035B0: BF800003
	s_mov_b32 s34, 0                                           // 0000000035B4: BEA20080
	s_mov_b32 s35, 0                                           // 0000000035B8: BEA30080
	s_mul_i32 s43, 64, s47                                     // 0000000035BC: 922B2FC0
	s_mul_i32 s44, 64, s76                                     // 0000000035C0: 922C4CC0
	s_mul_i32 s40, s88, s50                                    // 0000000035C4: 92283258
	s_mul_hi_u32 s42, s88, s50                                 // 0000000035C8: 962A3258
	s_and_b32 s42, s42, 0xffff                                 // 0000000035CC: 862AFF2A 0000FFFF
	s_mul_i32 s41, s2, s32                                     // 0000000035D4: 92292002
	s_add_u32 s40, s40, s41                                    // 0000000035D8: 80282928
	s_add_u32 s8, s40, s8                                      // 0000000035DC: 80080828
	s_addc_u32 s9, s42, s9                                     // 0000000035E0: 8209092A
	s_mul_i32 s40, s88, s79                                    // 0000000035E4: 92284F58
	s_mul_hi_u32 s42, s88, s79                                 // 0000000035E8: 962A4F58
	s_and_b32 s42, s42, 0xffff                                 // 0000000035EC: 862AFF2A 0000FFFF
	s_mul_i32 s41, s2, s80                                     // 0000000035F4: 92295002
	s_add_u32 s40, s40, s41                                    // 0000000035F8: 80282928
	s_add_u32 s20, s40, s20                                    // 0000000035FC: 80141428
	s_addc_u32 s21, s42, s21                                   // 000000003600: 8215152A
	s_mul_i32 s40, s2, s82                                     // 000000003604: 92285202
	s_mul_i32 s41, s88, 4                                      // 000000003608: 92298458
	s_add_i32 s40, s40, s41                                    // 00000000360C: 81282928
	s_add_u32 s24, s40, s24                                    // 000000003610: 80181828
	s_addc_u32 s25, 0, s25                                     // 000000003614: 82191980
	s_mul_i32 s40, s89, s47                                    // 000000003618: 92282F59
	s_mul_hi_u32 s42, s89, s47                                 // 00000000361C: 962A2F59
	s_and_b32 s42, s42, 0xffff                                 // 000000003620: 862AFF2A 0000FFFF
	s_mul_i32 s41, s62, s48                                    // 000000003628: 9229303E
	s_add_u32 s40, s40, s41                                    // 00000000362C: 80282928
	s_add_u32 s12, s40, s12                                    // 000000003630: 800C0C28
	s_addc_u32 s13, s42, s13                                   // 000000003634: 820D0D2A
	s_mul_i32 s40, s89, s76                                    // 000000003638: 92284C59
	s_mul_hi_u32 s42, s89, s76                                 // 00000000363C: 962A4C59
	s_and_b32 s42, s42, 0xffff                                 // 000000003640: 862AFF2A 0000FFFF
	s_mul_i32 s41, s62, s77                                    // 000000003648: 92294D3E
	s_add_u32 s40, s40, s41                                    // 00000000364C: 80282928
	s_add_u32 s16, s40, s16                                    // 000000003650: 80101028
	s_addc_u32 s17, s42, s17                                   // 000000003654: 8211112A
	s_mov_b32 s52, 0                                           // 000000003658: BEB40080
	s_mov_b32 s53, 64                                          // 00000000365C: BEB500C0
	s_mov_b32 s36, 0                                           // 000000003660: BEA40080
	s_mov_b32 s29, 0x3fb8aa3b                                  // 000000003664: BE9D00FF 3FB8AA3B
	v_mov_b32_e32 v27, 0xff800000                              // 00000000366C: 7E3602FF FF800000
	s_lshr_b32 s54, s7, 6                                      // 000000003674: 8F368607
	s_lshl_b32 s54, s54, 6                                     // 000000003678: 8E368636
	v_lshrrev_b32_e32 v12, 5, v0                               // 00000000367C: 20180085
	v_mul_i32_i24_e32 v26, 4, v12                              // 000000003680: 0C341884
	s_mov_b32 s38, s7                                          // 000000003684: BEA60007
	s_mov_b32 s39, 0                                           // 000000003688: BEA70080
	v_mov_b32_e32 v13, s29                                     // 00000000368C: 7E1A021D
	v_mov_b32_e32 v12, s28                                     // 000000003690: 7E18021C
	v_mul_f32_e32 v12, s29, v12                                // 000000003694: 0A18181D
	v_rcp_f32_e32 v13, v13                                     // 000000003698: 7E1A450D
	v_mov_b32_e32 v18, 0                                       // 00000000369C: 7E240280
	v_mov_b32_e32 v24, 0xff7fffff                              // 0000000036A0: 7E3002FF FF7FFFFF
	v_mov_b32_e32 v16, 0                                       // 0000000036A8: 7E200280
	v_mov_b32_e32 v18, 0                                       // 0000000036AC: 7E240280
	v_readfirstlane_b32 s37, v12                               // 0000000036B0: 7E4A050C
	v_readfirstlane_b32 s45, v13                               // 0000000036B4: 7E5A050D
	v_rcp_f32_e32 v12, v12                                     // 0000000036B8: 7E18450C
	s_nop 1                                                    // 0000000036BC: BF800001
	v_mul_f32_e32 v12, v24, v12                                // 0000000036C0: 0A181918
	v_max_f32_e32 v24, v24, v12                                // 0000000036C4: 16301918
	s_mul_i32 s59, s4, s31                                     // 0000000036C8: 923B1F04
	v_lshrrev_b32_e32 v12, 3, v0                               // 0000000036CC: 20180083
	v_and_b32_e32 v13, 1, v12                                  // 0000000036D0: 261A1881
	v_mul_i32_i24_e32 v13, s50, v13                            // 0000000036D4: 0C1A1A32
	v_lshrrev_b32_e32 v14, 1, v12                              // 0000000036D8: 201C1881
	v_mul_i32_i24_e32 v14, s50, v14                            // 0000000036DC: 0C1C1C32
	v_mul_i32_i24_e32 v14, 32, v14                             // 0000000036E0: 0C1C1CA0
	v_and_b32_e32 v12, 7, v0                                   // 0000000036E4: 26180087
	v_lshlrev_b32_e32 v12, 4, v12                              // 0000000036E8: 24181884
	s_mul_i32 s40, s5, s50                                     // 0000000036EC: 92283205
	s_mul_i32 s40, 2, s40                                      // 0000000036F0: 92282882
	s_add_u32 s40, s59, s40                                    // 0000000036F4: 8028283B
	v_add_u32_e32 v4, s40, v12                                 // 0000000036F8: 68081828
	v_add_u32_e32 v4, v13, v4                                  // 0000000036FC: 6808090D
	v_add_u32_e32 v4, v14, v4                                  // 000000003700: 6808090E
	s_mul_i32 s40, 16, s50                                     // 000000003704: 92283290
	v_add_u32_e32 v5, s40, v4                                  // 000000003708: 680A0828
	v_add_u32_e32 v6, 0x80, v4                                 // 00000000370C: 680C08FF 00000080
	v_add_u32_e32 v7, s40, v6                                  // 000000003714: 680E0C28
	s_mul_i32 s63, 0x408, s5                                   // 000000003718: 923F05FF 00000408
	s_add_u32 s63, 0x8200, s63                                 // 000000003720: 803F3FFF 00008200
	s_mov_b32 m0, s63                                          // 000000003728: BEFC003F
	s_mul_i32 s40, s50, 0x80                                   // 00000000372C: 9228FF32 00000080
	buffer_load_dwordx4 v4, s[8:11], 0 offen lds               // 000000003734: E05D1000 80020004
	s_add_u32 m0, 0x2040, m0                                   // 00000000373C: 807C7CFF 00002040
	v_add_u32_e32 v4, s40, v4                                  // 000000003744: 68080828
	v_mov_b32_e32 v96, 0                                       // 000000003748: 7EC00280
	v_mov_b32_e32 v97, 0                                       // 00000000374C: 7EC20280
	v_mov_b32_e32 v98, 0                                       // 000000003750: 7EC40280
	v_mov_b32_e32 v99, 0                                       // 000000003754: 7EC60280
	v_mov_b32_e32 v100, 0                                      // 000000003758: 7EC80280
	v_mov_b32_e32 v101, 0                                      // 00000000375C: 7ECA0280
	v_mov_b32_e32 v102, 0                                      // 000000003760: 7ECC0280
	v_mov_b32_e32 v103, 0                                      // 000000003764: 7ECE0280
	v_mov_b32_e32 v104, 0                                      // 000000003768: 7ED00280
	v_mov_b32_e32 v105, 0                                      // 00000000376C: 7ED20280
	v_mov_b32_e32 v106, 0                                      // 000000003770: 7ED40280
	v_mov_b32_e32 v107, 0                                      // 000000003774: 7ED60280
	v_mov_b32_e32 v108, 0                                      // 000000003778: 7ED80280
	v_mov_b32_e32 v109, 0                                      // 00000000377C: 7EDA0280
	v_mov_b32_e32 v110, 0                                      // 000000003780: 7EDC0280
	v_mov_b32_e32 v111, 0                                      // 000000003784: 7EDE0280
	buffer_load_dwordx4 v5, s[8:11], 0 offen lds               // 000000003788: E05D1000 80020005
	s_add_u32 m0, 0x2040, m0                                   // 000000003790: 807C7CFF 00002040
	v_add_u32_e32 v5, s40, v5                                  // 000000003798: 680A0A28
	v_mov_b32_e32 v112, 0                                      // 00000000379C: 7EE00280
	v_mov_b32_e32 v113, 0                                      // 0000000037A0: 7EE20280
	v_mov_b32_e32 v114, 0                                      // 0000000037A4: 7EE40280
	v_mov_b32_e32 v115, 0                                      // 0000000037A8: 7EE60280
	v_mov_b32_e32 v116, 0                                      // 0000000037AC: 7EE80280
	v_mov_b32_e32 v117, 0                                      // 0000000037B0: 7EEA0280
	v_mov_b32_e32 v118, 0                                      // 0000000037B4: 7EEC0280
	v_mov_b32_e32 v119, 0                                      // 0000000037B8: 7EEE0280
	v_mov_b32_e32 v120, 0                                      // 0000000037BC: 7EF00280
	v_mov_b32_e32 v121, 0                                      // 0000000037C0: 7EF20280
	v_mov_b32_e32 v122, 0                                      // 0000000037C4: 7EF40280
	v_mov_b32_e32 v123, 0                                      // 0000000037C8: 7EF60280
	v_mov_b32_e32 v124, 0                                      // 0000000037CC: 7EF80280
	v_mov_b32_e32 v125, 0                                      // 0000000037D0: 7EFA0280
	v_mov_b32_e32 v126, 0                                      // 0000000037D4: 7EFC0280
	v_mov_b32_e32 v127, 0                                      // 0000000037D8: 7EFE0280
	buffer_load_dwordx4 v6, s[8:11], 0 offen lds               // 0000000037DC: E05D1000 80020006
	s_add_u32 m0, 0x2040, m0                                   // 0000000037E4: 807C7CFF 00002040
	v_add_u32_e32 v6, s40, v6                                  // 0000000037EC: 680C0C28
	v_mov_b32_e32 v128, 0                                      // 0000000037F0: 7F000280
	v_mov_b32_e32 v129, 0                                      // 0000000037F4: 7F020280
	v_mov_b32_e32 v130, 0                                      // 0000000037F8: 7F040280
	v_mov_b32_e32 v131, 0                                      // 0000000037FC: 7F060280
	v_mov_b32_e32 v132, 0                                      // 000000003800: 7F080280
	v_mov_b32_e32 v133, 0                                      // 000000003804: 7F0A0280
	v_mov_b32_e32 v134, 0                                      // 000000003808: 7F0C0280
	v_mov_b32_e32 v135, 0                                      // 00000000380C: 7F0E0280
	v_mov_b32_e32 v136, 0                                      // 000000003810: 7F100280
	v_mov_b32_e32 v137, 0                                      // 000000003814: 7F120280
	v_mov_b32_e32 v138, 0                                      // 000000003818: 7F140280
	v_mov_b32_e32 v139, 0                                      // 00000000381C: 7F160280
	v_mov_b32_e32 v140, 0                                      // 000000003820: 7F180280
	v_mov_b32_e32 v141, 0                                      // 000000003824: 7F1A0280
	v_mov_b32_e32 v142, 0                                      // 000000003828: 7F1C0280
	v_mov_b32_e32 v143, 0                                      // 00000000382C: 7F1E0280
	buffer_load_dwordx4 v7, s[8:11], 0 offen lds               // 000000003830: E05D1000 80020007
	s_add_u32 m0, 0x2040, m0                                   // 000000003838: 807C7CFF 00002040
	v_add_u32_e32 v7, s40, v7                                  // 000000003840: 680E0E28
	v_mov_b32_e32 v144, 0                                      // 000000003844: 7F200280
	v_mov_b32_e32 v145, 0                                      // 000000003848: 7F220280
	v_mov_b32_e32 v146, 0                                      // 00000000384C: 7F240280
	v_mov_b32_e32 v147, 0                                      // 000000003850: 7F260280
	v_mov_b32_e32 v148, 0                                      // 000000003854: 7F280280
	v_mov_b32_e32 v149, 0                                      // 000000003858: 7F2A0280
	v_mov_b32_e32 v150, 0                                      // 00000000385C: 7F2C0280
	v_mov_b32_e32 v151, 0                                      // 000000003860: 7F2E0280
	v_mov_b32_e32 v152, 0                                      // 000000003864: 7F300280
	v_mov_b32_e32 v153, 0                                      // 000000003868: 7F320280
	v_mov_b32_e32 v154, 0                                      // 00000000386C: 7F340280
	v_mov_b32_e32 v155, 0                                      // 000000003870: 7F360280
	v_mov_b32_e32 v156, 0                                      // 000000003874: 7F380280
	v_mov_b32_e32 v157, 0                                      // 000000003878: 7F3A0280
	v_mov_b32_e32 v158, 0                                      // 00000000387C: 7F3C0280
	v_mov_b32_e32 v159, 0                                      // 000000003880: 7F3E0280
	buffer_load_dwordx4 v4, s[8:11], 0 offen lds               // 000000003884: E05D1000 80020004
	s_add_u32 m0, 0x2040, m0                                   // 00000000388C: 807C7CFF 00002040
	v_add_u32_e32 v4, s40, v4                                  // 000000003894: 68080828
	buffer_load_dwordx4 v5, s[8:11], 0 offen lds               // 000000003898: E05D1000 80020005
	s_add_u32 m0, 0x2040, m0                                   // 0000000038A0: 807C7CFF 00002040
	v_add_u32_e32 v5, s40, v5                                  // 0000000038A8: 680A0A28
	buffer_load_dwordx4 v6, s[8:11], 0 offen lds               // 0000000038AC: E05D1000 80020006
	s_add_u32 m0, 0x2040, m0                                   // 0000000038B4: 807C7CFF 00002040
	v_add_u32_e32 v6, s40, v6                                  // 0000000038BC: 680C0C28
	buffer_load_dwordx4 v7, s[8:11], 0 offen lds               // 0000000038C0: E05D1000 80020007
	s_add_u32 m0, 0x2040, m0                                   // 0000000038C8: 807C7CFF 00002040
	v_add_u32_e32 v7, s40, v7                                  // 0000000038D0: 680E0E28
	s_cmp_le_u32 s7, 0                                         // 0000000038D4: BF0B8007
	s_cbranch_scc1 label_0F20                                  // 0000000038D8: BF850DA9
	v_and_b32_e32 v12, 31, v0                                  // 0000000038DC: 2618009F
	v_and_b32_e32 v13, 1, v12                                  // 0000000038E0: 261A1881
	v_mul_i32_i24_e32 v13, 0x80, v13                           // 0000000038E4: 0C1A1AFF 00000080
	v_lshrrev_b32_e32 v14, 1, v12                              // 0000000038EC: 201C1881
	v_mul_i32_i24_e32 v14, 0x408, v14                          // 0000000038F0: 0C1C1CFF 00000408
	v_lshrrev_b32_e32 v12, 5, v0                               // 0000000038F8: 20180085
	v_mul_i32_i24_e32 v12, 16, v12                             // 0000000038FC: 0C181890
	v_add_u32_e32 v2, v12, v13                                 // 000000003900: 68041B0C
	v_add_u32_e32 v2, v14, v2                                  // 000000003904: 6804050E
	v_add_u32_e32 v2, 0x8200, v2                               // 000000003908: 680404FF 00008200
	s_and_b32 s40, 3, s5                                       // 000000003910: 86280583
	s_mul_i32 s40, s40, 0x100                                  // 000000003914: 9228FF28 00000100
	v_add_u32_e32 v2, s40, v2                                  // 00000000391C: 68040428
	s_lshr_b32 s40, s5, 2                                      // 000000003920: 8F288205
	s_mul_i32 s40, s40, 0x8100                                 // 000000003924: 9228FF28 00008100
	v_add_u32_e32 v2, s40, v2                                  // 00000000392C: 68040428
	v_add_u32_e32 v3, 0x4080, v2                               // 000000003930: 680604FF 00004080
	v_lshrrev_b32_e32 v12, 5, v0                               // 000000003938: 20180085
	v_mul_i32_i24_e32 v8, 16, v12                              // 00000000393C: 0C101890
	v_and_b32_e32 v12, 31, v0                                  // 000000003940: 2618009F
	v_lshrrev_b32_e32 v12, 2, v12                              // 000000003944: 20181882
	v_and_b32_e32 v13, 1, v12                                  // 000000003948: 261A1881
	v_mul_i32_i24_e32 v13, 0x100, v13                          // 00000000394C: 0C1A1AFF 00000100
	v_lshrrev_b32_e32 v12, 1, v12                              // 000000003954: 20181881
	v_mul_i32_i24_e32 v12, 2, v12                              // 000000003958: 0C181882
	v_mul_i32_i24_e32 v12, 0x410, v12                          // 00000000395C: 0C1818FF 00000410
	v_add_u32_e32 v8, v8, v12                                  // 000000003964: 68101908
	v_add_u32_e32 v8, v8, v13                                  // 000000003968: 68101B08
	v_and_b32_e32 v12, 3, v0                                   // 00000000396C: 26180083
	v_and_b32_e32 v13, 1, v12                                  // 000000003970: 261A1881
	v_mul_i32_i24_e32 v13, 0x80, v13                           // 000000003974: 0C1A1AFF 00000080
	v_lshrrev_b32_e32 v12, 1, v12                              // 00000000397C: 20181881
	v_mul_i32_i24_e32 v12, 0x410, v12                          // 000000003980: 0C1818FF 00000410
	v_add_u32_e32 v8, v8, v12                                  // 000000003988: 68101908
	v_add_u32_e32 v8, v8, v13                                  // 00000000398C: 68101B08
	v_add_u32_e32 v8, 0, v8                                    // 000000003990: 68101080
	v_add_u32_e32 v9, 0x4100, v8                               // 000000003994: 681210FF 00004100
	v_lshrrev_b32_e32 v12, 2, v0                               // 00000000399C: 20180082
	v_and_b32_e32 v12, 3, v12                                  // 0000000039A0: 26181883
	v_and_b32_e32 v13, 1, v12                                  // 0000000039A4: 261A1881
	v_mul_i32_i24_e32 v13, 0x80, v13                           // 0000000039A8: 0C1A1AFF 00000080
	v_lshrrev_b32_e32 v12, 1, v12                              // 0000000039B0: 20181881
	v_mul_i32_i24_e32 v12, 0x440, v12                          // 0000000039B4: 0C1818FF 00000440
	v_add_u32_e32 v10, v13, v12                                // 0000000039BC: 6814190D
	v_and_b32_e32 v12, 3, v0                                   // 0000000039C0: 26180083
	v_mul_i32_i24_e32 v12, 8, v12                              // 0000000039C4: 0C181888
	v_add_u32_e32 v10, v12, v10                                // 0000000039C8: 6814150C
	v_lshrrev_b32_e32 v12, 4, v0                               // 0000000039CC: 20180084
	v_and_b32_e32 v13, 1, v12                                  // 0000000039D0: 261A1881
	v_mul_i32_i24_e32 v13, 32, v13                             // 0000000039D4: 0C1A1AA0
	v_add_u32_e32 v10, v13, v10                                // 0000000039D8: 6814150D
	v_lshrrev_b32_e32 v13, 1, v12                              // 0000000039DC: 201A1881
	v_mul_i32_i24_e32 v13, 0x100, v13                          // 0000000039E0: 0C1A1AFF 00000100
	v_add_u32_e32 v10, v13, v10                                // 0000000039E8: 6814150D
	v_add_u32_e32 v10, 0x8200, v10                             // 0000000039EC: 681414FF 00008200
	v_add_u32_e32 v11, 0x4400, v10                             // 0000000039F4: 681614FF 00004400
	v_lshrrev_b32_e32 v12, 3, v0                               // 0000000039FC: 20180083
	v_lshrrev_b32_e32 v13, 2, v12                              // 000000003A00: 201A1882
	v_lshlrev_b32_e32 v13, 5, v13                              // 000000003A04: 241A1A85
	v_and_b32_e32 v12, 3, v12                                  // 000000003A08: 26181883
	v_lshrrev_b32_e32 v12, 1, v12                              // 000000003A0C: 20181881
	v_lshlrev_b32_e32 v12, 2, v12                              // 000000003A10: 24181882
	v_add_u32_e32 v13, v13, v12                                // 000000003A14: 681A190D
	v_lshrrev_b32_e32 v12, 3, v0                               // 000000003A18: 20180083
	v_and_b32_e32 v12, 1, v12                                  // 000000003A1C: 26181881
	v_add_u32_e32 v12, v13, v12                                // 000000003A20: 6818190D
	v_mul_i32_i24_e32 v12, s47, v12                            // 000000003A24: 0C18182F
	v_and_b32_e32 v4, 7, v0                                    // 000000003A28: 26080087
	v_lshlrev_b32_e32 v4, 4, v4                                // 000000003A2C: 24080884
	v_add_u32_e32 v4, v12, v4                                  // 000000003A30: 6808090C
	s_and_b32 s40, 1, s5                                       // 000000003A34: 86280581
	s_mul_i32 s40, s40, s47                                    // 000000003A38: 92282F28
	s_mul_i32 s40, s40, 2                                      // 000000003A3C: 92288228
	s_and_b32 s42, 3, s5                                       // 000000003A40: 862A0583
	s_lshr_b32 s41, s42, 1                                     // 000000003A44: 8F29812A
	s_mul_i32 s41, s41, s47                                    // 000000003A48: 92292F29
	s_mul_i32 s41, s41, 8                                      // 000000003A4C: 92298829
	s_lshr_b32 s42, s5, 2                                      // 000000003A50: 8F2A8205
	s_mul_i32 s42, s42, s47                                    // 000000003A54: 922A2F2A
	s_mul_i32 s42, s42, 16                                     // 000000003A58: 922A902A
	s_add_u32 s40, s41, s40                                    // 000000003A5C: 80282829
	s_add_u32 s40, s42, s40                                    // 000000003A60: 8028282A
	v_add_u32_e32 v4, s40, v4                                  // 000000003A64: 68080828
	v_add_u32_e32 v5, 0x80, v4                                 // 000000003A68: 680A08FF 00000080
	s_mul_i32 s64, 0x410, s5                                   // 000000003A70: 924005FF 00000410
	s_add_u32 s64, 0, s64                                      // 000000003A78: 80404080
	s_add_u32 s65, 0x4100, s64                                 // 000000003A7C: 804140FF 00004100
	v_lshrrev_b32_e32 v12, 3, v0                               // 000000003A84: 20180083
	v_lshrrev_b32_e32 v13, 1, v12                              // 000000003A88: 201A1881
	v_lshlrev_b32_e32 v13, 2, v13                              // 000000003A8C: 241A1A82
	v_and_b32_e32 v14, 1, v12                                  // 000000003A90: 261C1881
	v_add_u32_e32 v13, v14, v13                                // 000000003A94: 681A1B0E
	v_mul_i32_i24_e32 v13, s76, v13                            // 000000003A98: 0C1A1A4C
	v_and_b32_e32 v12, 7, v0                                   // 000000003A9C: 26180087
	v_lshlrev_b32_e32 v12, 4, v12                              // 000000003AA0: 24181884
	v_add_u32_e32 v12, v13, v12                                // 000000003AA4: 6818190D
	s_and_b32 s40, 1, s5                                       // 000000003AA8: 86280581
	s_and_b32 s42, 3, s5                                       // 000000003AAC: 862A0583
	s_lshr_b32 s41, s42, 1                                     // 000000003AB0: 8F29812A
	s_mul_i32 s40, s40, s76                                    // 000000003AB4: 92284C28
	s_mul_i32 s40, s40, 2                                      // 000000003AB8: 92288228
	s_mul_i32 s41, s41, s76                                    // 000000003ABC: 92294C29
	s_mul_i32 s41, s41, 16                                     // 000000003AC0: 92299029
	s_lshr_b32 s42, s5, 2                                      // 000000003AC4: 8F2A8205
	s_mul_i32 s42, s42, s76                                    // 000000003AC8: 922A4C2A
	s_mul_i32 s42, s42, 32                                     // 000000003ACC: 922AA02A
	s_add_u32 s40, s41, s40                                    // 000000003AD0: 80282829
	s_add_u32 s40, s42, s40                                    // 000000003AD4: 8028282A
	v_add_u32_e32 v6, s40, v12                                 // 000000003AD8: 680C1828
	v_add_u32_e32 v7, 0x80, v6                                 // 000000003ADC: 680E0CFF 00000080
	s_mul_i32 s66, 0x440, s5                                   // 000000003AE4: 924205FF 00000440
	s_add_u32 s66, 0x8200, s66                                 // 000000003AEC: 804242FF 00008200
	s_add_u32 s67, 0x4400, s66                                 // 000000003AF4: 804342FF 00004400
	s_mov_b32 m0, s64                                          // 000000003AFC: BEFC0040
	buffer_load_dwordx4 v4, s[12:15], s34 offen lds            // 000000003B00: E05D1000 22030004
	s_add_u32 m0, 0x2080, m0                                   // 000000003B08: 807C7CFF 00002080
	buffer_load_dwordx4 v5, s[12:15], s34 offen lds            // 000000003B10: E05D1000 22030005
	s_add_u32 m0, 0x2080, m0                                   // 000000003B18: 807C7CFF 00002080
	s_add_i32 s34, s43, s34                                    // 000000003B20: 8122222B
	s_waitcnt vmcnt(2)                                         // 000000003B24: BF8C0F72
	s_barrier                                                  // 000000003B28: BF8A0000
	ds_read_b64 v[160:161], v2                                 // 000000003B2C: D8EC0000 A0000002
	ds_read_b64 v[162:163], v2 offset:8                        // 000000003B34: D8EC0008 A2000002
	ds_read_b64 v[164:165], v2 offset:32                       // 000000003B3C: D8EC0020 A4000002
	ds_read_b64 v[166:167], v2 offset:40                       // 000000003B44: D8EC0028 A6000002
	ds_read_b64 v[168:169], v2 offset:64                       // 000000003B4C: D8EC0040 A8000002
	ds_read_b64 v[170:171], v2 offset:72                       // 000000003B54: D8EC0048 AA000002
	ds_read_b64 v[172:173], v2 offset:96                       // 000000003B5C: D8EC0060 AC000002
	ds_read_b64 v[174:175], v2 offset:104                      // 000000003B64: D8EC0068 AE000002
	ds_read_b64 v[176:177], v3                                 // 000000003B6C: D8EC0000 B0000003
	ds_read_b64 v[178:179], v3 offset:8                        // 000000003B74: D8EC0008 B2000003
	ds_read_b64 v[180:181], v3 offset:32                       // 000000003B7C: D8EC0020 B4000003
	ds_read_b64 v[182:183], v3 offset:40                       // 000000003B84: D8EC0028 B6000003
	ds_read_b64 v[184:185], v3 offset:64                       // 000000003B8C: D8EC0040 B8000003
	ds_read_b64 v[186:187], v3 offset:72                       // 000000003B94: D8EC0048 BA000003
	ds_read_b64 v[188:189], v3 offset:96                       // 000000003B9C: D8EC0060 BC000003
	ds_read_b64 v[190:191], v3 offset:104                      // 000000003BA4: D8EC0068 BE000003
	s_waitcnt vmcnt(0)                                         // 000000003BAC: BF8C0F70
	s_barrier                                                  // 000000003BB0: BF8A0000
	ds_read_b128 v[192:195], v8                                // 000000003BB4: D9FE0000 C0000008
	ds_read_b128 v[208:211], v8 offset:512                     // 000000003BBC: D9FE0200 D0000008
	ds_read_b128 v[196:199], v8 offset:32                      // 000000003BC4: D9FE0020 C4000008
	ds_read_b128 v[212:215], v8 offset:544                     // 000000003BCC: D9FE0220 D4000008
	ds_read_b128 v[200:203], v8 offset:64                      // 000000003BD4: D9FE0040 C8000008
	ds_read_b128 v[216:219], v8 offset:576                     // 000000003BDC: D9FE0240 D8000008
	ds_read_b128 v[204:207], v8 offset:96                      // 000000003BE4: D9FE0060 CC000008
	ds_read_b128 v[220:223], v8 offset:608                     // 000000003BEC: D9FE0260 DC000008
	ds_read_b128 v[224:227], v8 offset:8320                    // 000000003BF4: D9FE2080 E0000008
	ds_read_b128 v[240:243], v8 offset:8832                    // 000000003BFC: D9FE2280 F0000008
	ds_read_b128 v[228:231], v8 offset:8352                    // 000000003C04: D9FE20A0 E4000008
	ds_read_b128 v[244:247], v8 offset:8864                    // 000000003C0C: D9FE22A0 F4000008
	ds_read_b128 v[232:235], v8 offset:8384                    // 000000003C14: D9FE20C0 E8000008
	ds_read_b128 v[248:251], v8 offset:8896                    // 000000003C1C: D9FE22C0 F8000008
	ds_read_b128 v[236:239], v8 offset:8416                    // 000000003C24: D9FE20E0 EC000008
	ds_read_b128 v[252:255], v8 offset:8928                    // 000000003C2C: D9FE22E0 FC000008
	s_waitcnt lgkmcnt(0)                                       // 000000003C34: BF8CC07F
	s_barrier                                                  // 000000003C38: BF8A0000
	s_mov_b32 m0, s65                                          // 000000003C3C: BEFC0041
	v_mfma_f32_32x32x16_bf16 v[32:47], v[192:195], v[160:163], 0// 000000003C40: D3B70020 020341C0
	buffer_load_dwordx4 v4, s[12:15], s34 offen lds            // 000000003C48: E05D1000 22030004
	s_add_u32 m0, 0x2080, m0                                   // 000000003C50: 807C7CFF 00002080
	v_mfma_f32_32x32x16_bf16 v[32:47], v[196:199], v[164:167], v[32:47]// 000000003C58: D3B70020 048349C4
	v_mfma_f32_32x32x16_bf16 v[32:47], v[200:203], v[168:171], v[32:47]// 000000003C60: D3B70020 048351C8
	buffer_load_dwordx4 v5, s[12:15], s34 offen lds            // 000000003C68: E05D1000 22030005
	s_add_u32 m0, 0x2080, m0                                   // 000000003C70: 807C7CFF 00002080
	s_mov_b32 m0, s66                                          // 000000003C78: BEFC0042
	v_mfma_f32_32x32x16_bf16 v[32:47], v[204:207], v[172:175], v[32:47]// 000000003C7C: D3B70020 048359CC
	v_mfma_f32_32x32x16_bf16 v[32:47], v[224:227], v[176:179], v[32:47]// 000000003C84: D3B70020 048361E0
	buffer_load_dwordx4 v6, s[16:19], s35 offen lds            // 000000003C8C: E05D1000 23040006
	s_add_u32 m0, 0x2200, m0                                   // 000000003C94: 807C7CFF 00002200
	v_mfma_f32_32x32x16_bf16 v[32:47], v[228:231], v[180:183], v[32:47]// 000000003C9C: D3B70020 048369E4
	v_mfma_f32_32x32x16_bf16 v[32:47], v[232:235], v[184:187], v[32:47]// 000000003CA4: D3B70020 048371E8
	buffer_load_dwordx4 v7, s[16:19], s35 offen lds            // 000000003CAC: E05D1000 23040007
	s_add_u32 m0, 0x2200, m0                                   // 000000003CB4: 807C7CFF 00002200
	v_mfma_f32_32x32x16_bf16 v[32:47], v[236:239], v[188:191], v[32:47]// 000000003CBC: D3B70020 048379EC
	v_mfma_f32_32x32x16_bf16 v[48:63], v[208:211], v[160:163], 0// 000000003CC4: D3B70030 020341D0
	v_mfma_f32_32x32x16_bf16 v[48:63], v[212:215], v[164:167], v[48:63]// 000000003CCC: D3B70030 04C349D4
	v_mfma_f32_32x32x16_bf16 v[48:63], v[216:219], v[168:171], v[48:63]// 000000003CD4: D3B70030 04C351D8
	v_mfma_f32_32x32x16_bf16 v[48:63], v[220:223], v[172:175], v[48:63]// 000000003CDC: D3B70030 04C359DC
	v_mfma_f32_32x32x16_bf16 v[48:63], v[240:243], v[176:179], v[48:63]// 000000003CE4: D3B70030 04C361F0
	v_mfma_f32_32x32x16_bf16 v[48:63], v[244:247], v[180:183], v[48:63]// 000000003CEC: D3B70030 04C369F4
	v_mfma_f32_32x32x16_bf16 v[48:63], v[248:251], v[184:187], v[48:63]// 000000003CF4: D3B70030 04C371F8
	v_mfma_f32_32x32x16_bf16 v[48:63], v[252:255], v[188:191], v[48:63]// 000000003CFC: D3B70030 04C379FC
	s_add_i32 s34, s43, s34                                    // 000000003D04: 8122222B
	s_add_i32 s35, s44, s35                                    // 000000003D08: 8123232C
	s_cmp_lt_i32 s52, s54                                      // 000000003D0C: BF043634
	s_cbranch_scc1 label_0308                                  // 000000003D10: BF850083
	s_sub_i32 s40, s7, s52                                     // 000000003D14: 81A83407
	v_sub_i32 v12, s40, v26                                    // 000000003D18: D29D000C 00023428
	v_cmp_lt_i32_e64 s[68:69], 0, v12                          // 000000003D20: D0C10044 00021880
	v_cmp_lt_i32_e64 s[70:71], 1, v12                          // 000000003D28: D0C10046 00021881
	v_cndmask_b32_e64 v32, v27, v32, s[68:69]                  // 000000003D30: D1000020 0112411B
	v_cndmask_b32_e64 v33, v27, v33, s[70:71]                  // 000000003D38: D1000021 011A431B
	v_cmp_lt_i32_e64 s[68:69], 2, v12                          // 000000003D40: D0C10044 00021882
	v_cmp_lt_i32_e64 s[70:71], 3, v12                          // 000000003D48: D0C10046 00021883
	v_cndmask_b32_e64 v34, v27, v34, s[68:69]                  // 000000003D50: D1000022 0112451B
	v_cndmask_b32_e64 v35, v27, v35, s[70:71]                  // 000000003D58: D1000023 011A471B
	v_cmp_lt_i32_e64 s[68:69], 8, v12                          // 000000003D60: D0C10044 00021888
	v_cmp_lt_i32_e64 s[70:71], 9, v12                          // 000000003D68: D0C10046 00021889
	v_cndmask_b32_e64 v36, v27, v36, s[68:69]                  // 000000003D70: D1000024 0112491B
	v_cndmask_b32_e64 v37, v27, v37, s[70:71]                  // 000000003D78: D1000025 011A4B1B
	v_cmp_lt_i32_e64 s[68:69], 10, v12                         // 000000003D80: D0C10044 0002188A
	v_cmp_lt_i32_e64 s[70:71], 11, v12                         // 000000003D88: D0C10046 0002188B
	v_cndmask_b32_e64 v38, v27, v38, s[68:69]                  // 000000003D90: D1000026 01124D1B
	v_cndmask_b32_e64 v39, v27, v39, s[70:71]                  // 000000003D98: D1000027 011A4F1B
	v_cmp_lt_i32_e64 s[68:69], 16, v12                         // 000000003DA0: D0C10044 00021890
	v_cmp_lt_i32_e64 s[70:71], 17, v12                         // 000000003DA8: D0C10046 00021891
	v_cndmask_b32_e64 v40, v27, v40, s[68:69]                  // 000000003DB0: D1000028 0112511B
	v_cndmask_b32_e64 v41, v27, v41, s[70:71]                  // 000000003DB8: D1000029 011A531B
	v_cmp_lt_i32_e64 s[68:69], 18, v12                         // 000000003DC0: D0C10044 00021892
	v_cmp_lt_i32_e64 s[70:71], 19, v12                         // 000000003DC8: D0C10046 00021893
	v_cndmask_b32_e64 v42, v27, v42, s[68:69]                  // 000000003DD0: D100002A 0112551B
	v_cndmask_b32_e64 v43, v27, v43, s[70:71]                  // 000000003DD8: D100002B 011A571B
	v_cmp_lt_i32_e64 s[68:69], 24, v12                         // 000000003DE0: D0C10044 00021898
	v_cmp_lt_i32_e64 s[70:71], 25, v12                         // 000000003DE8: D0C10046 00021899
	v_cndmask_b32_e64 v44, v27, v44, s[68:69]                  // 000000003DF0: D100002C 0112591B
	v_cndmask_b32_e64 v45, v27, v45, s[70:71]                  // 000000003DF8: D100002D 011A5B1B
	v_cmp_lt_i32_e64 s[68:69], 26, v12                         // 000000003E00: D0C10044 0002189A
	v_cmp_lt_i32_e64 s[70:71], 27, v12                         // 000000003E08: D0C10046 0002189B
	v_cndmask_b32_e64 v46, v27, v46, s[68:69]                  // 000000003E10: D100002E 01125D1B
	v_cndmask_b32_e64 v47, v27, v47, s[70:71]                  // 000000003E18: D100002F 011A5F1B
	v_cmp_lt_i32_e64 s[68:69], 32, v12                         // 000000003E20: D0C10044 000218A0
	v_cmp_lt_i32_e64 s[70:71], 33, v12                         // 000000003E28: D0C10046 000218A1
	v_cndmask_b32_e64 v48, v27, v48, s[68:69]                  // 000000003E30: D1000030 0112611B
	v_cndmask_b32_e64 v49, v27, v49, s[70:71]                  // 000000003E38: D1000031 011A631B
	v_cmp_lt_i32_e64 s[68:69], 34, v12                         // 000000003E40: D0C10044 000218A2
	v_cmp_lt_i32_e64 s[70:71], 35, v12                         // 000000003E48: D0C10046 000218A3
	v_cndmask_b32_e64 v50, v27, v50, s[68:69]                  // 000000003E50: D1000032 0112651B
	v_cndmask_b32_e64 v51, v27, v51, s[70:71]                  // 000000003E58: D1000033 011A671B
	v_cmp_lt_i32_e64 s[68:69], 40, v12                         // 000000003E60: D0C10044 000218A8
	v_cmp_lt_i32_e64 s[70:71], 41, v12                         // 000000003E68: D0C10046 000218A9
	v_cndmask_b32_e64 v52, v27, v52, s[68:69]                  // 000000003E70: D1000034 0112691B
	v_cndmask_b32_e64 v53, v27, v53, s[70:71]                  // 000000003E78: D1000035 011A6B1B
	v_cmp_lt_i32_e64 s[68:69], 42, v12                         // 000000003E80: D0C10044 000218AA
	v_cmp_lt_i32_e64 s[70:71], 43, v12                         // 000000003E88: D0C10046 000218AB
	v_cndmask_b32_e64 v54, v27, v54, s[68:69]                  // 000000003E90: D1000036 01126D1B
	v_cndmask_b32_e64 v55, v27, v55, s[70:71]                  // 000000003E98: D1000037 011A6F1B
	v_cmp_lt_i32_e64 s[68:69], 48, v12                         // 000000003EA0: D0C10044 000218B0
	v_cmp_lt_i32_e64 s[70:71], 49, v12                         // 000000003EA8: D0C10046 000218B1
	v_cndmask_b32_e64 v56, v27, v56, s[68:69]                  // 000000003EB0: D1000038 0112711B
	v_cndmask_b32_e64 v57, v27, v57, s[70:71]                  // 000000003EB8: D1000039 011A731B
	v_cmp_lt_i32_e64 s[68:69], 50, v12                         // 000000003EC0: D0C10044 000218B2
	v_cmp_lt_i32_e64 s[70:71], 51, v12                         // 000000003EC8: D0C10046 000218B3
	v_cndmask_b32_e64 v58, v27, v58, s[68:69]                  // 000000003ED0: D100003A 0112751B
	v_cndmask_b32_e64 v59, v27, v59, s[70:71]                  // 000000003ED8: D100003B 011A771B
	v_cmp_lt_i32_e64 s[68:69], 56, v12                         // 000000003EE0: D0C10044 000218B8
	v_cmp_lt_i32_e64 s[70:71], 57, v12                         // 000000003EE8: D0C10046 000218B9
	v_cndmask_b32_e64 v60, v27, v60, s[68:69]                  // 000000003EF0: D100003C 0112791B
	v_cndmask_b32_e64 v61, v27, v61, s[70:71]                  // 000000003EF8: D100003D 011A7B1B
	v_cmp_lt_i32_e64 s[68:69], 58, v12                         // 000000003F00: D0C10044 000218BA
	v_cmp_lt_i32_e64 s[70:71], 59, v12                         // 000000003F08: D0C10046 000218BB
	v_cndmask_b32_e64 v62, v27, v62, s[68:69]                  // 000000003F10: D100003E 01127D1B
	v_cndmask_b32_e64 v63, v27, v63, s[70:71]                  // 000000003F18: D100003F 011A7F1B

0000000000003f20 <label_0308>:
	v_mov_b32_e32 v21, v24                                     // 000000003F20: 7E2A0318
	v_max3_f32 v21, v32, v33, v21                              // 000000003F24: D1D30015 04564320
	v_max3_f32 v21, v34, v35, v21                              // 000000003F2C: D1D30015 04564722
	v_max3_f32 v21, v36, v37, v21                              // 000000003F34: D1D30015 04564B24
	v_max3_f32 v21, v38, v39, v21                              // 000000003F3C: D1D30015 04564F26
	v_max3_f32 v21, v40, v41, v21                              // 000000003F44: D1D30015 04565328
	v_max3_f32 v21, v42, v43, v21                              // 000000003F4C: D1D30015 0456572A
	v_max3_f32 v21, v44, v45, v21                              // 000000003F54: D1D30015 04565B2C
	v_max3_f32 v21, v46, v47, v21                              // 000000003F5C: D1D30015 04565F2E
	v_max3_f32 v21, v48, v49, v21                              // 000000003F64: D1D30015 04566330
	v_max3_f32 v21, v50, v51, v21                              // 000000003F6C: D1D30015 04566732
	v_max3_f32 v21, v52, v53, v21                              // 000000003F74: D1D30015 04566B34
	v_max3_f32 v21, v54, v55, v21                              // 000000003F7C: D1D30015 04566F36
	v_max3_f32 v21, v56, v57, v21                              // 000000003F84: D1D30015 04567338
	v_max3_f32 v21, v58, v59, v21                              // 000000003F8C: D1D30015 0456773A
	v_max3_f32 v21, v60, v61, v21                              // 000000003F94: D1D30015 04567B3C
	v_max3_f32 v21, v62, v63, v21                              // 000000003F9C: D1D30015 04567F3E
	v_mov_b32_e32 v20, v21                                     // 000000003FA4: 7E280315
	v_nop                                                      // 000000003FA8: 7E000000
	v_nop                                                      // 000000003FAC: 7E000000
	v_permlane32_swap_b32_e32 v20, v21                         // 000000003FB0: 7E28B515
	v_max_f32_e32 v21, v20, v21                                // 000000003FB4: 162A2B14
	v_mov_b32_e32 v16, 0                                       // 000000003FB8: 7E200280
	v_mov_b32_e32 v24, v21                                     // 000000003FBC: 7E300315
	v_mul_f32_e32 v23, s37, v21                                // 000000003FC0: 0A2E2A25
	v_mul_f32_e32 v16, s37, v16                                // 000000003FC4: 0A202025
	v_exp_f32_e32 v16, v16                                     // 000000003FC8: 7E204110
	v_fma_f32 v32, v32, s37, -v23                              // 000000003FCC: D1CB0020 845C4B20
	v_fma_f32 v33, v33, s37, -v23                              // 000000003FD4: D1CB0021 845C4B21
	v_fma_f32 v34, v34, s37, -v23                              // 000000003FDC: D1CB0022 845C4B22
	v_fma_f32 v35, v35, s37, -v23                              // 000000003FE4: D1CB0023 845C4B23
	v_fma_f32 v36, v36, s37, -v23                              // 000000003FEC: D1CB0024 845C4B24
	v_fma_f32 v37, v37, s37, -v23                              // 000000003FF4: D1CB0025 845C4B25
	v_fma_f32 v38, v38, s37, -v23                              // 000000003FFC: D1CB0026 845C4B26
	v_fma_f32 v39, v39, s37, -v23                              // 000000004004: D1CB0027 845C4B27
	v_fma_f32 v40, v40, s37, -v23                              // 00000000400C: D1CB0028 845C4B28
	v_fma_f32 v41, v41, s37, -v23                              // 000000004014: D1CB0029 845C4B29
	v_fma_f32 v42, v42, s37, -v23                              // 00000000401C: D1CB002A 845C4B2A
	v_fma_f32 v43, v43, s37, -v23                              // 000000004024: D1CB002B 845C4B2B
	v_fma_f32 v44, v44, s37, -v23                              // 00000000402C: D1CB002C 845C4B2C
	v_fma_f32 v45, v45, s37, -v23                              // 000000004034: D1CB002D 845C4B2D
	v_fma_f32 v46, v46, s37, -v23                              // 00000000403C: D1CB002E 845C4B2E
	v_fma_f32 v47, v47, s37, -v23                              // 000000004044: D1CB002F 845C4B2F
	v_fma_f32 v48, v48, s37, -v23                              // 00000000404C: D1CB0030 845C4B30
	v_fma_f32 v49, v49, s37, -v23                              // 000000004054: D1CB0031 845C4B31
	v_fma_f32 v50, v50, s37, -v23                              // 00000000405C: D1CB0032 845C4B32
	v_fma_f32 v51, v51, s37, -v23                              // 000000004064: D1CB0033 845C4B33
	v_fma_f32 v52, v52, s37, -v23                              // 00000000406C: D1CB0034 845C4B34
	v_fma_f32 v53, v53, s37, -v23                              // 000000004074: D1CB0035 845C4B35
	v_fma_f32 v54, v54, s37, -v23                              // 00000000407C: D1CB0036 845C4B36
	v_fma_f32 v55, v55, s37, -v23                              // 000000004084: D1CB0037 845C4B37
	v_fma_f32 v56, v56, s37, -v23                              // 00000000408C: D1CB0038 845C4B38
	v_fma_f32 v57, v57, s37, -v23                              // 000000004094: D1CB0039 845C4B39
	v_fma_f32 v58, v58, s37, -v23                              // 00000000409C: D1CB003A 845C4B3A
	v_fma_f32 v59, v59, s37, -v23                              // 0000000040A4: D1CB003B 845C4B3B
	v_fma_f32 v60, v60, s37, -v23                              // 0000000040AC: D1CB003C 845C4B3C
	v_fma_f32 v61, v61, s37, -v23                              // 0000000040B4: D1CB003D 845C4B3D
	v_fma_f32 v62, v62, s37, -v23                              // 0000000040BC: D1CB003E 845C4B3E
	v_fma_f32 v63, v63, s37, -v23                              // 0000000040C4: D1CB003F 845C4B3F
	v_exp_f32_e32 v32, v32                                     // 0000000040CC: 7E404120
	v_exp_f32_e32 v33, v33                                     // 0000000040D0: 7E424121
	v_exp_f32_e32 v34, v34                                     // 0000000040D4: 7E444122
	v_exp_f32_e32 v35, v35                                     // 0000000040D8: 7E464123
	v_exp_f32_e32 v36, v36                                     // 0000000040DC: 7E484124
	v_exp_f32_e32 v37, v37                                     // 0000000040E0: 7E4A4125
	v_exp_f32_e32 v38, v38                                     // 0000000040E4: 7E4C4126
	v_exp_f32_e32 v39, v39                                     // 0000000040E8: 7E4E4127
	v_exp_f32_e32 v40, v40                                     // 0000000040EC: 7E504128
	v_exp_f32_e32 v41, v41                                     // 0000000040F0: 7E524129
	v_exp_f32_e32 v42, v42                                     // 0000000040F4: 7E54412A
	v_exp_f32_e32 v43, v43                                     // 0000000040F8: 7E56412B
	v_exp_f32_e32 v44, v44                                     // 0000000040FC: 7E58412C
	v_exp_f32_e32 v45, v45                                     // 000000004100: 7E5A412D
	v_exp_f32_e32 v46, v46                                     // 000000004104: 7E5C412E
	v_exp_f32_e32 v47, v47                                     // 000000004108: 7E5E412F
	v_exp_f32_e32 v48, v48                                     // 00000000410C: 7E604130
	v_exp_f32_e32 v49, v49                                     // 000000004110: 7E624131
	v_mov_b32_e32 v17, v16                                     // 000000004114: 7E220310
	v_mul_f32_e32 v110, v16, v110                              // 000000004118: 0ADCDD10
	v_mul_f32_e32 v111, v16, v111                              // 00000000411C: 0ADEDF10
	v_pk_mul_f32 v[112:113], v[16:17], v[112:113]              // 000000004120: D3B14070 1802E110
	v_pk_mul_f32 v[114:115], v[16:17], v[114:115]              // 000000004128: D3B14072 1802E510
	v_pk_mul_f32 v[116:117], v[16:17], v[116:117]              // 000000004130: D3B14074 1802E910
	v_pk_mul_f32 v[118:119], v[16:17], v[118:119]              // 000000004138: D3B14076 1802ED10
	v_pk_mul_f32 v[120:121], v[16:17], v[120:121]              // 000000004140: D3B14078 1802F110
	v_pk_mul_f32 v[122:123], v[16:17], v[122:123]              // 000000004148: D3B1407A 1802F510
	v_pk_mul_f32 v[124:125], v[16:17], v[124:125]              // 000000004150: D3B1407C 1802F910
	v_pk_mul_f32 v[126:127], v[16:17], v[126:127]              // 000000004158: D3B1407E 1802FD10
	v_pk_mul_f32 v[128:129], v[16:17], v[128:129]              // 000000004160: D3B14080 18030110
	v_pk_mul_f32 v[130:131], v[16:17], v[130:131]              // 000000004168: D3B14082 18030510
	v_pk_mul_f32 v[132:133], v[16:17], v[132:133]              // 000000004170: D3B14084 18030910
	v_pk_mul_f32 v[134:135], v[16:17], v[134:135]              // 000000004178: D3B14086 18030D10
	v_pk_mul_f32 v[136:137], v[16:17], v[136:137]              // 000000004180: D3B14088 18031110
	v_pk_mul_f32 v[138:139], v[16:17], v[138:139]              // 000000004188: D3B1408A 18031510
	v_pk_mul_f32 v[140:141], v[16:17], v[140:141]              // 000000004190: D3B1408C 18031910
	v_pk_mul_f32 v[142:143], v[16:17], v[142:143]              // 000000004198: D3B1408E 18031D10
	v_pk_mul_f32 v[144:145], v[16:17], v[144:145]              // 0000000041A0: D3B14090 18032110
	v_pk_mul_f32 v[146:147], v[16:17], v[146:147]              // 0000000041A8: D3B14092 18032510
	v_pk_mul_f32 v[148:149], v[16:17], v[148:149]              // 0000000041B0: D3B14094 18032910
	v_pk_mul_f32 v[150:151], v[16:17], v[150:151]              // 0000000041B8: D3B14096 18032D10
	v_pk_mul_f32 v[152:153], v[16:17], v[152:153]              // 0000000041C0: D3B14098 18033110
	v_pk_mul_f32 v[154:155], v[16:17], v[154:155]              // 0000000041C8: D3B1409A 18033510
	v_pk_mul_f32 v[156:157], v[16:17], v[156:157]              // 0000000041D0: D3B1409C 18033910
	v_pk_mul_f32 v[158:159], v[16:17], v[158:159]              // 0000000041D8: D3B1409E 18033D10
	s_addk_i32 s39, 0x40                                       // 0000000041E0: B7270040
	s_add_i32 s52, s52, s53                                    // 0000000041E4: 81343534
	s_mov_b32 m0, s64                                          // 0000000041E8: BEFC0040
	buffer_load_dwordx4 v4, s[12:15], s34 offen lds            // 0000000041EC: E05D1000 22030004
	s_add_u32 m0, 0x2080, m0                                   // 0000000041F4: 807C7CFF 00002080
	buffer_load_dwordx4 v5, s[12:15], s34 offen lds            // 0000000041FC: E05D1000 22030005
	s_add_u32 m0, 0x2080, m0                                   // 000000004204: 807C7CFF 00002080
	s_add_i32 s34, s43, s34                                    // 00000000420C: 8122222B
	s_waitcnt vmcnt(4)                                         // 000000004210: BF8C0F74
	s_barrier                                                  // 000000004214: BF8A0000
	s_cmp_lt_i32 s39, s38                                      // 000000004218: BF042627
	s_cbranch_scc0 label_0D94                                  // 00000000421C: BF8409CC
	s_cmp_lt_i32 s5, 4                                         // 000000004220: BF048405
	s_cbranch_scc0 label_08CD                                  // 000000004224: BF840503
	s_mov_b32 m0, s67                                          // 000000004228: BEFC0043
	buffer_load_dwordx4 v6, s[16:19], s35 offen lds            // 00000000422C: E05D1000 23040006
	s_add_u32 m0, 0x2200, m0                                   // 000000004234: 807C7CFF 00002200
	buffer_load_dwordx4 v7, s[16:19], s35 offen lds            // 00000000423C: E05D1000 23040007
	s_add_u32 m0, 0x2200, m0                                   // 000000004244: 807C7CFF 00002200
	s_add_i32 s35, s44, s35                                    // 00000000424C: 8123232C
	ds_read_b128 v[192:195], v9                                // 000000004250: D9FE0000 C0000009
	ds_read_b128 v[208:211], v9 offset:512                     // 000000004258: D9FE0200 D0000009
	ds_read_b128 v[196:199], v9 offset:32                      // 000000004260: D9FE0020 C4000009
	ds_read_b128 v[212:215], v9 offset:544                     // 000000004268: D9FE0220 D4000009
	ds_read_b128 v[200:203], v9 offset:64                      // 000000004270: D9FE0040 C8000009
	ds_read_b128 v[216:219], v9 offset:576                     // 000000004278: D9FE0240 D8000009
	ds_read_b128 v[204:207], v9 offset:96                      // 000000004280: D9FE0060 CC000009
	ds_read_b128 v[220:223], v9 offset:608                     // 000000004288: D9FE0260 DC000009
	ds_read_b128 v[224:227], v9 offset:8320                    // 000000004290: D9FE2080 E0000009
	ds_read_b128 v[240:243], v9 offset:8832                    // 000000004298: D9FE2280 F0000009
	ds_read_b128 v[228:231], v9 offset:8352                    // 0000000042A0: D9FE20A0 E4000009
	ds_read_b128 v[244:247], v9 offset:8864                    // 0000000042A8: D9FE22A0 F4000009
	ds_read_b128 v[232:235], v9 offset:8384                    // 0000000042B0: D9FE20C0 E8000009
	ds_read_b128 v[248:251], v9 offset:8896                    // 0000000042B8: D9FE22C0 F8000009
	ds_read_b128 v[236:239], v9 offset:8416                    // 0000000042C0: D9FE20E0 EC000009
	ds_read_b128 v[252:255], v9 offset:8928                    // 0000000042C8: D9FE22E0 FC000009
	s_setprio 0                                                // 0000000042D0: BF8F0000
	s_barrier                                                  // 0000000042D4: BF8A0000

00000000000042d8 <label_03F6>:
	s_waitcnt lgkmcnt(0)                                       // 0000000042D8: BF8CC07F
	v_nop                                                      // 0000000042DC: 7E000000
	v_mfma_f32_32x32x16_bf16 v[64:79], v[192:195], v[160:163], 0// 0000000042E0: D3B70040 020341C0
	v_exp_f32_e32 v50, v50                                     // 0000000042E8: 7E644132
	v_exp_f32_e32 v51, v51                                     // 0000000042EC: 7E664133
	v_exp_f32_e32 v52, v52                                     // 0000000042F0: 7E684134
	v_mfma_f32_32x32x16_bf16 v[64:79], v[196:199], v[164:167], v[64:79]// 0000000042F4: D3B70040 050349C4
	v_exp_f32_e32 v53, v53                                     // 0000000042FC: 7E6A4135
	v_exp_f32_e32 v54, v54                                     // 000000004300: 7E6C4136
	v_exp_f32_e32 v55, v55                                     // 000000004304: 7E6E4137
	v_mfma_f32_32x32x16_bf16 v[64:79], v[200:203], v[168:171], v[64:79]// 000000004308: D3B70040 050351C8
	v_exp_f32_e32 v56, v56                                     // 000000004310: 7E704138
	v_exp_f32_e32 v57, v57                                     // 000000004314: 7E724139
	v_exp_f32_e32 v58, v58                                     // 000000004318: 7E74413A
	v_mfma_f32_32x32x16_bf16 v[64:79], v[204:207], v[172:175], v[64:79]// 00000000431C: D3B70040 050359CC
	v_exp_f32_e32 v59, v59                                     // 000000004324: 7E76413B
	v_exp_f32_e32 v60, v60                                     // 000000004328: 7E78413C
	v_exp_f32_e32 v61, v61                                     // 00000000432C: 7E7A413D
	v_mfma_f32_32x32x16_bf16 v[64:79], v[224:227], v[176:179], v[64:79]// 000000004330: D3B70040 050361E0
	v_exp_f32_e32 v62, v62                                     // 000000004338: 7E7C413E
	v_exp_f32_e32 v63, v63                                     // 00000000433C: 7E7E413F
	v_mul_f32_e32 v18, v16, v18                                // 000000004340: 0A242510
	v_add_f32_e32 v19, v33, v32                                // 000000004344: 02264121
	v_mfma_f32_32x32x16_bf16 v[64:79], v[228:231], v[180:183], v[64:79]// 000000004348: D3B70040 050369E4
	v_add_f32_e32 v19, v34, v19                                // 000000004350: 02262722
	v_add_f32_e32 v19, v35, v19                                // 000000004354: 02262723
	;; [unrolled: 1-line block ×3, first 2 shown]
	v_add_f32_e32 v19, v37, v19                                // 00000000435C: 02262725
	v_add_f32_e32 v19, v38, v19                                // 000000004360: 02262726
	v_add_f32_e32 v19, v39, v19                                // 000000004364: 02262727
	v_mfma_f32_32x32x16_bf16 v[64:79], v[232:235], v[184:187], v[64:79]// 000000004368: D3B70040 050371E8
	v_add_f32_e32 v19, v40, v19                                // 000000004370: 02262728
	v_add_f32_e32 v19, v41, v19                                // 000000004374: 02262729
	v_add_f32_e32 v19, v42, v19                                // 000000004378: 0226272A
	v_add_f32_e32 v19, v43, v19                                // 00000000437C: 0226272B
	v_add_f32_e32 v19, v44, v19                                // 000000004380: 0226272C
	v_add_f32_e32 v19, v45, v19                                // 000000004384: 0226272D
	v_mfma_f32_32x32x16_bf16 v[64:79], v[236:239], v[188:191], v[64:79]// 000000004388: D3B70040 050379EC
	v_add_f32_e32 v19, v46, v19                                // 000000004390: 0226272E
	v_add_f32_e32 v19, v47, v19                                // 000000004394: 0226272F
	v_add_f32_e32 v19, v48, v19                                // 000000004398: 02262730
	v_add_f32_e32 v19, v49, v19                                // 00000000439C: 02262731
	v_add_f32_e32 v19, v50, v19                                // 0000000043A0: 02262732
	v_add_f32_e32 v19, v51, v19                                // 0000000043A4: 02262733
	v_mfma_f32_32x32x16_bf16 v[80:95], v[208:211], v[160:163], 0// 0000000043A8: D3B70050 020341D0
	v_add_f32_e32 v19, v52, v19                                // 0000000043B0: 02262734
	v_add_f32_e32 v19, v53, v19                                // 0000000043B4: 02262735
	v_add_f32_e32 v19, v54, v19                                // 0000000043B8: 02262736
	v_add_f32_e32 v19, v55, v19                                // 0000000043BC: 02262737
	v_add_f32_e32 v19, v56, v19                                // 0000000043C0: 02262738
	v_add_f32_e32 v19, v57, v19                                // 0000000043C4: 02262739
	v_mfma_f32_32x32x16_bf16 v[80:95], v[212:215], v[164:167], v[80:95]// 0000000043C8: D3B70050 054349D4
	v_add_f32_e32 v19, v58, v19                                // 0000000043D0: 0226273A
	v_add_f32_e32 v19, v59, v19                                // 0000000043D4: 0226273B
	v_add_f32_e32 v19, v60, v19                                // 0000000043D8: 0226273C
	v_add_f32_e32 v19, v61, v19                                // 0000000043DC: 0226273D
	v_add_f32_e32 v19, v62, v19                                // 0000000043E0: 0226273E
	v_add_f32_e32 v19, v63, v19                                // 0000000043E4: 0226273F
	v_mfma_f32_32x32x16_bf16 v[80:95], v[216:219], v[168:171], v[80:95]// 0000000043E8: D3B70050 054351D8
	v_mov_b32_e32 v20, v19                                     // 0000000043F0: 7E280313
	v_mul_f32_e32 v96, v16, v96                                // 0000000043F4: 0AC0C110
	v_mul_f32_e32 v97, v16, v97                                // 0000000043F8: 0AC2C310
	v_permlane32_swap_b32_e32 v20, v19                         // 0000000043FC: 7E28B513
	v_add_f32_e32 v20, v20, v19                                // 000000004400: 02282714
	v_mfma_f32_32x32x16_bf16 v[80:95], v[220:223], v[172:175], v[80:95]// 000000004404: D3B70050 054359DC
	v_add_f32_e32 v18, v20, v18                                // 00000000440C: 02242514
	v_mul_f32_e32 v98, v16, v98                                // 000000004410: 0AC4C510
	v_mul_f32_e32 v99, v16, v99                                // 000000004414: 0AC6C710
	v_mul_f32_e32 v100, v16, v100                              // 000000004418: 0AC8C910
	v_mul_f32_e32 v101, v16, v101                              // 00000000441C: 0ACACB10
	v_mul_f32_e32 v102, v16, v102                              // 000000004420: 0ACCCD10
	v_mfma_f32_32x32x16_bf16 v[80:95], v[240:243], v[176:179], v[80:95]// 000000004424: D3B70050 054361F0
	v_mul_f32_e32 v103, v16, v103                              // 00000000442C: 0ACECF10
	v_mul_f32_e32 v104, v16, v104                              // 000000004430: 0AD0D110
	v_mul_f32_e32 v105, v16, v105                              // 000000004434: 0AD2D310
	v_mul_f32_e32 v106, v16, v106                              // 000000004438: 0AD4D510
	v_mul_f32_e32 v107, v16, v107                              // 00000000443C: 0AD6D710
	v_mul_f32_e32 v108, v16, v108                              // 000000004440: 0AD8D910
	v_mfma_f32_32x32x16_bf16 v[80:95], v[244:247], v[180:183], v[80:95]// 000000004444: D3B70050 054369F4
	v_mul_f32_e32 v109, v16, v109                              // 00000000444C: 0ADADB10
	v_cvt_pk_bf16_f32 v32, v32, v33                            // 000000004450: D2680020 00024320
	v_cvt_pk_bf16_f32 v33, v34, v35                            // 000000004458: D2680021 00024722
	v_cvt_pk_bf16_f32 v34, v36, v37                            // 000000004460: D2680022 00024B24
	v_cvt_pk_bf16_f32 v35, v38, v39                            // 000000004468: D2680023 00024F26
	v_cvt_pk_bf16_f32 v36, v40, v41                            // 000000004470: D2680024 00025328
	v_mfma_f32_32x32x16_bf16 v[80:95], v[248:251], v[184:187], v[80:95]// 000000004478: D3B70050 054371F8
	v_cvt_pk_bf16_f32 v37, v42, v43                            // 000000004480: D2680025 0002572A
	v_cvt_pk_bf16_f32 v38, v44, v45                            // 000000004488: D2680026 00025B2C
	v_cvt_pk_bf16_f32 v39, v46, v47                            // 000000004490: D2680027 00025F2E
	v_cvt_pk_bf16_f32 v40, v48, v49                            // 000000004498: D2680028 00026330
	v_cvt_pk_bf16_f32 v41, v50, v51                            // 0000000044A0: D2680029 00026732
	v_cvt_pk_bf16_f32 v42, v52, v53                            // 0000000044A8: D268002A 00026B34
	v_mfma_f32_32x32x16_bf16 v[80:95], v[252:255], v[188:191], v[80:95]// 0000000044B0: D3B70050 054379FC
	v_cvt_pk_bf16_f32 v43, v54, v55                            // 0000000044B8: D268002B 00026F36
	v_cvt_pk_bf16_f32 v44, v56, v57                            // 0000000044C0: D268002C 00027338
	v_cvt_pk_bf16_f32 v45, v58, v59                            // 0000000044C8: D268002D 0002773A
	v_cvt_pk_bf16_f32 v46, v60, v61                            // 0000000044D0: D268002E 00027B3C
	v_cvt_pk_bf16_f32 v47, v62, v63                            // 0000000044D8: D268002F 00027F3E
	s_waitcnt vmcnt(4)                                         // 0000000044E0: BF8C0F74
	s_barrier                                                  // 0000000044E4: BF8A0000
	s_mov_b32 m0, s65                                          // 0000000044E8: BEFC0041
	buffer_load_dwordx4 v4, s[12:15], s34 offen lds            // 0000000044EC: E05D1000 22030004
	s_add_u32 m0, 0x2080, m0                                   // 0000000044F4: 807C7CFF 00002080
	buffer_load_dwordx4 v5, s[12:15], s34 offen lds            // 0000000044FC: E05D1000 22030005
	s_add_u32 m0, 0x2080, m0                                   // 000000004504: 807C7CFF 00002080
	s_add_i32 s34, s43, s34                                    // 00000000450C: 8122222B
	s_nop 0                                                    // 000000004510: BF800000
	s_add_u32 s40, 0x100, s39                                  // 000000004514: 802827FF 00000100
	s_nop 0                                                    // 00000000451C: BF800000
	s_cmp_lt_u32 s40, s38                                      // 000000004520: BF0A2628
	s_cselect_b32 s43, s43, 0                                  // 000000004524: 852B802B
	ds_read_b64_tr_b16 v[192:193], v10                         // 000000004528: D9C60000 C000000A
	ds_read_b64_tr_b16 v[194:195], v10 offset:512              // 000000004530: D9C60200 C200000A
	ds_read_b64_tr_b16 v[208:209], v10 offset:64               // 000000004538: D9C60040 D000000A
	ds_read_b64_tr_b16 v[210:211], v10 offset:576              // 000000004540: D9C60240 D200000A
	ds_read_b64_tr_b16 v[196:197], v10 offset:2176             // 000000004548: D9C60880 C400000A
	ds_read_b64_tr_b16 v[198:199], v10 offset:2688             // 000000004550: D9C60A80 C600000A
	ds_read_b64_tr_b16 v[212:213], v10 offset:2240             // 000000004558: D9C608C0 D400000A
	ds_read_b64_tr_b16 v[214:215], v10 offset:2752             // 000000004560: D9C60AC0 D600000A
	ds_read_b64_tr_b16 v[200:201], v10 offset:4352             // 000000004568: D9C61100 C800000A
	ds_read_b64_tr_b16 v[202:203], v10 offset:4864             // 000000004570: D9C61300 CA00000A
	ds_read_b64_tr_b16 v[216:217], v10 offset:4416             // 000000004578: D9C61140 D800000A
	ds_read_b64_tr_b16 v[218:219], v10 offset:4928             // 000000004580: D9C61340 DA00000A
	ds_read_b64_tr_b16 v[204:205], v10 offset:6528             // 000000004588: D9C61980 CC00000A
	ds_read_b64_tr_b16 v[206:207], v10 offset:7040             // 000000004590: D9C61B80 CE00000A
	ds_read_b64_tr_b16 v[220:221], v10 offset:6592             // 000000004598: D9C619C0 DC00000A
	ds_read_b64_tr_b16 v[222:223], v10 offset:7104             // 0000000045A0: D9C61BC0 DE00000A
	ds_read_b64_tr_b16 v[224:225], v10 offset:8704             // 0000000045A8: D9C62200 E000000A
	ds_read_b64_tr_b16 v[226:227], v10 offset:9216             // 0000000045B0: D9C62400 E200000A
	ds_read_b64_tr_b16 v[240:241], v10 offset:8768             // 0000000045B8: D9C62240 F000000A
	ds_read_b64_tr_b16 v[242:243], v10 offset:9280             // 0000000045C0: D9C62440 F200000A
	ds_read_b64_tr_b16 v[228:229], v10 offset:10880            // 0000000045C8: D9C62A80 E400000A
	ds_read_b64_tr_b16 v[230:231], v10 offset:11392            // 0000000045D0: D9C62C80 E600000A
	ds_read_b64_tr_b16 v[244:245], v10 offset:10944            // 0000000045D8: D9C62AC0 F400000A
	ds_read_b64_tr_b16 v[246:247], v10 offset:11456            // 0000000045E0: D9C62CC0 F600000A
	ds_read_b64_tr_b16 v[232:233], v10 offset:13056            // 0000000045E8: D9C63300 E800000A
	ds_read_b64_tr_b16 v[234:235], v10 offset:13568            // 0000000045F0: D9C63500 EA00000A
	ds_read_b64_tr_b16 v[248:249], v10 offset:13120            // 0000000045F8: D9C63340 F800000A
	ds_read_b64_tr_b16 v[250:251], v10 offset:13632            // 000000004600: D9C63540 FA00000A
	ds_read_b64_tr_b16 v[236:237], v10 offset:15232            // 000000004608: D9C63B80 EC00000A
	ds_read_b64_tr_b16 v[238:239], v10 offset:15744            // 000000004610: D9C63D80 EE00000A
	ds_read_b64_tr_b16 v[252:253], v10 offset:15296            // 000000004618: D9C63BC0 FC00000A
	ds_read_b64_tr_b16 v[254:255], v10 offset:15808            // 000000004620: D9C63DC0 FE00000A
	s_nop 0                                                    // 000000004628: BF800000
	s_cmp_lt_i32 s52, s54                                      // 00000000462C: BF043634
	s_cbranch_scc1 label_0550                                  // 000000004630: BF850083
	s_sub_i32 s40, s7, s52                                     // 000000004634: 81A83407
	v_sub_i32 v12, s40, v26                                    // 000000004638: D29D000C 00023428
	v_cmp_lt_i32_e64 s[68:69], 0, v12                          // 000000004640: D0C10044 00021880
	v_cmp_lt_i32_e64 s[70:71], 1, v12                          // 000000004648: D0C10046 00021881
	v_cndmask_b32_e64 v64, v27, v64, s[68:69]                  // 000000004650: D1000040 0112811B
	v_cndmask_b32_e64 v65, v27, v65, s[70:71]                  // 000000004658: D1000041 011A831B
	v_cmp_lt_i32_e64 s[68:69], 2, v12                          // 000000004660: D0C10044 00021882
	v_cmp_lt_i32_e64 s[70:71], 3, v12                          // 000000004668: D0C10046 00021883
	v_cndmask_b32_e64 v66, v27, v66, s[68:69]                  // 000000004670: D1000042 0112851B
	v_cndmask_b32_e64 v67, v27, v67, s[70:71]                  // 000000004678: D1000043 011A871B
	v_cmp_lt_i32_e64 s[68:69], 8, v12                          // 000000004680: D0C10044 00021888
	v_cmp_lt_i32_e64 s[70:71], 9, v12                          // 000000004688: D0C10046 00021889
	v_cndmask_b32_e64 v68, v27, v68, s[68:69]                  // 000000004690: D1000044 0112891B
	v_cndmask_b32_e64 v69, v27, v69, s[70:71]                  // 000000004698: D1000045 011A8B1B
	v_cmp_lt_i32_e64 s[68:69], 10, v12                         // 0000000046A0: D0C10044 0002188A
	v_cmp_lt_i32_e64 s[70:71], 11, v12                         // 0000000046A8: D0C10046 0002188B
	v_cndmask_b32_e64 v70, v27, v70, s[68:69]                  // 0000000046B0: D1000046 01128D1B
	v_cndmask_b32_e64 v71, v27, v71, s[70:71]                  // 0000000046B8: D1000047 011A8F1B
	v_cmp_lt_i32_e64 s[68:69], 16, v12                         // 0000000046C0: D0C10044 00021890
	v_cmp_lt_i32_e64 s[70:71], 17, v12                         // 0000000046C8: D0C10046 00021891
	v_cndmask_b32_e64 v72, v27, v72, s[68:69]                  // 0000000046D0: D1000048 0112911B
	v_cndmask_b32_e64 v73, v27, v73, s[70:71]                  // 0000000046D8: D1000049 011A931B
	v_cmp_lt_i32_e64 s[68:69], 18, v12                         // 0000000046E0: D0C10044 00021892
	v_cmp_lt_i32_e64 s[70:71], 19, v12                         // 0000000046E8: D0C10046 00021893
	v_cndmask_b32_e64 v74, v27, v74, s[68:69]                  // 0000000046F0: D100004A 0112951B
	v_cndmask_b32_e64 v75, v27, v75, s[70:71]                  // 0000000046F8: D100004B 011A971B
	v_cmp_lt_i32_e64 s[68:69], 24, v12                         // 000000004700: D0C10044 00021898
	v_cmp_lt_i32_e64 s[70:71], 25, v12                         // 000000004708: D0C10046 00021899
	v_cndmask_b32_e64 v76, v27, v76, s[68:69]                  // 000000004710: D100004C 0112991B
	v_cndmask_b32_e64 v77, v27, v77, s[70:71]                  // 000000004718: D100004D 011A9B1B
	v_cmp_lt_i32_e64 s[68:69], 26, v12                         // 000000004720: D0C10044 0002189A
	v_cmp_lt_i32_e64 s[70:71], 27, v12                         // 000000004728: D0C10046 0002189B
	v_cndmask_b32_e64 v78, v27, v78, s[68:69]                  // 000000004730: D100004E 01129D1B
	v_cndmask_b32_e64 v79, v27, v79, s[70:71]                  // 000000004738: D100004F 011A9F1B
	v_cmp_lt_i32_e64 s[68:69], 32, v12                         // 000000004740: D0C10044 000218A0
	v_cmp_lt_i32_e64 s[70:71], 33, v12                         // 000000004748: D0C10046 000218A1
	v_cndmask_b32_e64 v80, v27, v80, s[68:69]                  // 000000004750: D1000050 0112A11B
	v_cndmask_b32_e64 v81, v27, v81, s[70:71]                  // 000000004758: D1000051 011AA31B
	v_cmp_lt_i32_e64 s[68:69], 34, v12                         // 000000004760: D0C10044 000218A2
	v_cmp_lt_i32_e64 s[70:71], 35, v12                         // 000000004768: D0C10046 000218A3
	v_cndmask_b32_e64 v82, v27, v82, s[68:69]                  // 000000004770: D1000052 0112A51B
	v_cndmask_b32_e64 v83, v27, v83, s[70:71]                  // 000000004778: D1000053 011AA71B
	v_cmp_lt_i32_e64 s[68:69], 40, v12                         // 000000004780: D0C10044 000218A8
	v_cmp_lt_i32_e64 s[70:71], 41, v12                         // 000000004788: D0C10046 000218A9
	v_cndmask_b32_e64 v84, v27, v84, s[68:69]                  // 000000004790: D1000054 0112A91B
	v_cndmask_b32_e64 v85, v27, v85, s[70:71]                  // 000000004798: D1000055 011AAB1B
	v_cmp_lt_i32_e64 s[68:69], 42, v12                         // 0000000047A0: D0C10044 000218AA
	v_cmp_lt_i32_e64 s[70:71], 43, v12                         // 0000000047A8: D0C10046 000218AB
	v_cndmask_b32_e64 v86, v27, v86, s[68:69]                  // 0000000047B0: D1000056 0112AD1B
	v_cndmask_b32_e64 v87, v27, v87, s[70:71]                  // 0000000047B8: D1000057 011AAF1B
	v_cmp_lt_i32_e64 s[68:69], 48, v12                         // 0000000047C0: D0C10044 000218B0
	v_cmp_lt_i32_e64 s[70:71], 49, v12                         // 0000000047C8: D0C10046 000218B1
	v_cndmask_b32_e64 v88, v27, v88, s[68:69]                  // 0000000047D0: D1000058 0112B11B
	v_cndmask_b32_e64 v89, v27, v89, s[70:71]                  // 0000000047D8: D1000059 011AB31B
	v_cmp_lt_i32_e64 s[68:69], 50, v12                         // 0000000047E0: D0C10044 000218B2
	v_cmp_lt_i32_e64 s[70:71], 51, v12                         // 0000000047E8: D0C10046 000218B3
	v_cndmask_b32_e64 v90, v27, v90, s[68:69]                  // 0000000047F0: D100005A 0112B51B
	v_cndmask_b32_e64 v91, v27, v91, s[70:71]                  // 0000000047F8: D100005B 011AB71B
	v_cmp_lt_i32_e64 s[68:69], 56, v12                         // 000000004800: D0C10044 000218B8
	v_cmp_lt_i32_e64 s[70:71], 57, v12                         // 000000004808: D0C10046 000218B9
	v_cndmask_b32_e64 v92, v27, v92, s[68:69]                  // 000000004810: D100005C 0112B91B
	v_cndmask_b32_e64 v93, v27, v93, s[70:71]                  // 000000004818: D100005D 011ABB1B
	v_cmp_lt_i32_e64 s[68:69], 58, v12                         // 000000004820: D0C10044 000218BA
	v_cmp_lt_i32_e64 s[70:71], 59, v12                         // 000000004828: D0C10046 000218BB
	v_cndmask_b32_e64 v94, v27, v94, s[68:69]                  // 000000004830: D100005E 0112BD1B
	v_cndmask_b32_e64 v95, v27, v95, s[70:71]                  // 000000004838: D100005F 011ABF1B

0000000000004840 <label_0550>:
	s_nop 0                                                    // 000000004840: BF800000
	s_nop 0                                                    // 000000004844: BF800000
	;; [unrolled: 1-line block ×3, first 2 shown]
	s_waitcnt lgkmcnt(0)                                       // 00000000484C: BF8CC07F
	s_barrier                                                  // 000000004850: BF8A0000
	v_mfma_f32_32x32x16_bf16 v[96:111], v[192:195], v[32:35], v[96:111]// 000000004854: D3B70060 058241C0
	v_mov_b32_e32 v21, v24                                     // 00000000485C: 7E2A0318
	v_max3_f32 v21, v64, v65, v21                              // 000000004860: D1D30015 04568340
	v_max3_f32 v21, v66, v67, v21                              // 000000004868: D1D30015 04568742
	v_max3_f32 v21, v68, v69, v21                              // 000000004870: D1D30015 04568B44
	v_max3_f32 v21, v70, v71, v21                              // 000000004878: D1D30015 04568F46
	v_max3_f32 v21, v72, v73, v21                              // 000000004880: D1D30015 04569348
	v_mfma_f32_32x32x16_bf16 v[96:111], v[196:199], v[36:39], v[96:111]// 000000004888: D3B70060 058249C4
	v_max3_f32 v21, v74, v75, v21                              // 000000004890: D1D30015 0456974A
	v_max3_f32 v21, v76, v77, v21                              // 000000004898: D1D30015 04569B4C
	v_max3_f32 v21, v78, v79, v21                              // 0000000048A0: D1D30015 04569F4E
	v_max3_f32 v21, v80, v81, v21                              // 0000000048A8: D1D30015 0456A350
	v_max3_f32 v21, v82, v83, v21                              // 0000000048B0: D1D30015 0456A752
	v_max3_f32 v21, v84, v85, v21                              // 0000000048B8: D1D30015 0456AB54
	v_mfma_f32_32x32x16_bf16 v[96:111], v[200:203], v[40:43], v[96:111]// 0000000048C0: D3B70060 058251C8
	v_max3_f32 v21, v86, v87, v21                              // 0000000048C8: D1D30015 0456AF56
	v_max3_f32 v21, v88, v89, v21                              // 0000000048D0: D1D30015 0456B358
	v_max3_f32 v21, v90, v91, v21                              // 0000000048D8: D1D30015 0456B75A
	v_max3_f32 v21, v92, v93, v21                              // 0000000048E0: D1D30015 0456BB5C
	v_max3_f32 v21, v94, v95, v21                              // 0000000048E8: D1D30015 0456BF5E
	v_mov_b32_e32 v20, v21                                     // 0000000048F0: 7E280315
	v_mfma_f32_32x32x16_bf16 v[96:111], v[204:207], v[44:47], v[96:111]// 0000000048F4: D3B70060 058259CC
	v_nop                                                      // 0000000048FC: 7E000000
	v_nop                                                      // 000000004900: 7E000000
	v_permlane32_swap_b32_e32 v20, v21                         // 000000004904: 7E28B515
	v_max_f32_e32 v21, v20, v21                                // 000000004908: 162A2B14
	v_sub_f32_e32 v16, v24, v21                                // 00000000490C: 04202B18
	v_mfma_f32_32x32x16_bf16 v[112:127], v[208:211], v[32:35], v[112:127]// 000000004910: D3B70070 05C241D0
	v_mov_b32_e32 v24, v21                                     // 000000004918: 7E300315
	v_mul_f32_e32 v23, s37, v21                                // 00000000491C: 0A2E2A25
	v_mul_f32_e32 v16, s37, v16                                // 000000004920: 0A202025
	v_exp_f32_e32 v16, v16                                     // 000000004924: 7E204110
	v_fma_f32 v64, v64, s37, -v23                              // 000000004928: D1CB0040 845C4B40
	v_mfma_f32_32x32x16_bf16 v[112:127], v[212:215], v[36:39], v[112:127]// 000000004930: D3B70070 05C249D4
	v_fma_f32 v65, v65, s37, -v23                              // 000000004938: D1CB0041 845C4B41
	v_fma_f32 v66, v66, s37, -v23                              // 000000004940: D1CB0042 845C4B42
	v_fma_f32 v67, v67, s37, -v23                              // 000000004948: D1CB0043 845C4B43
	v_fma_f32 v68, v68, s37, -v23                              // 000000004950: D1CB0044 845C4B44
	v_fma_f32 v69, v69, s37, -v23                              // 000000004958: D1CB0045 845C4B45
	v_fma_f32 v70, v70, s37, -v23                              // 000000004960: D1CB0046 845C4B46
	v_mfma_f32_32x32x16_bf16 v[112:127], v[216:219], v[40:43], v[112:127]// 000000004968: D3B70070 05C251D8
	v_fma_f32 v71, v71, s37, -v23                              // 000000004970: D1CB0047 845C4B47
	v_fma_f32 v72, v72, s37, -v23                              // 000000004978: D1CB0048 845C4B48
	v_fma_f32 v73, v73, s37, -v23                              // 000000004980: D1CB0049 845C4B49
	v_fma_f32 v74, v74, s37, -v23                              // 000000004988: D1CB004A 845C4B4A
	v_fma_f32 v75, v75, s37, -v23                              // 000000004990: D1CB004B 845C4B4B
	v_fma_f32 v76, v76, s37, -v23                              // 000000004998: D1CB004C 845C4B4C
	v_mfma_f32_32x32x16_bf16 v[112:127], v[220:223], v[44:47], v[112:127]// 0000000049A0: D3B70070 05C259DC
	v_fma_f32 v77, v77, s37, -v23                              // 0000000049A8: D1CB004D 845C4B4D
	v_fma_f32 v78, v78, s37, -v23                              // 0000000049B0: D1CB004E 845C4B4E
	v_fma_f32 v79, v79, s37, -v23                              // 0000000049B8: D1CB004F 845C4B4F
	v_fma_f32 v80, v80, s37, -v23                              // 0000000049C0: D1CB0050 845C4B50
	v_fma_f32 v81, v81, s37, -v23                              // 0000000049C8: D1CB0051 845C4B51
	v_fma_f32 v82, v82, s37, -v23                              // 0000000049D0: D1CB0052 845C4B52
	v_mfma_f32_32x32x16_bf16 v[128:143], v[224:227], v[32:35], v[128:143]// 0000000049D8: D3B70080 060241E0
	v_fma_f32 v83, v83, s37, -v23                              // 0000000049E0: D1CB0053 845C4B53
	v_fma_f32 v84, v84, s37, -v23                              // 0000000049E8: D1CB0054 845C4B54
	v_fma_f32 v85, v85, s37, -v23                              // 0000000049F0: D1CB0055 845C4B55
	v_fma_f32 v86, v86, s37, -v23                              // 0000000049F8: D1CB0056 845C4B56
	v_fma_f32 v87, v87, s37, -v23                              // 000000004A00: D1CB0057 845C4B57
	v_fma_f32 v88, v88, s37, -v23                              // 000000004A08: D1CB0058 845C4B58
	v_mfma_f32_32x32x16_bf16 v[128:143], v[228:231], v[36:39], v[128:143]// 000000004A10: D3B70080 060249E4
	v_fma_f32 v89, v89, s37, -v23                              // 000000004A18: D1CB0059 845C4B59
	v_fma_f32 v90, v90, s37, -v23                              // 000000004A20: D1CB005A 845C4B5A
	v_fma_f32 v91, v91, s37, -v23                              // 000000004A28: D1CB005B 845C4B5B
	v_fma_f32 v92, v92, s37, -v23                              // 000000004A30: D1CB005C 845C4B5C
	v_fma_f32 v93, v93, s37, -v23                              // 000000004A38: D1CB005D 845C4B5D
	v_fma_f32 v94, v94, s37, -v23                              // 000000004A40: D1CB005E 845C4B5E
	v_mfma_f32_32x32x16_bf16 v[128:143], v[232:235], v[40:43], v[128:143]// 000000004A48: D3B70080 060251E8
	v_fma_f32 v95, v95, s37, -v23                              // 000000004A50: D1CB005F 845C4B5F
	v_exp_f32_e32 v64, v64                                     // 000000004A58: 7E804140
	v_exp_f32_e32 v65, v65                                     // 000000004A5C: 7E824141
	v_exp_f32_e32 v66, v66                                     // 000000004A60: 7E844142
	v_mfma_f32_32x32x16_bf16 v[128:143], v[236:239], v[44:47], v[128:143]// 000000004A64: D3B70080 060259EC
	v_exp_f32_e32 v67, v67                                     // 000000004A6C: 7E864143
	v_exp_f32_e32 v68, v68                                     // 000000004A70: 7E884144
	v_exp_f32_e32 v69, v69                                     // 000000004A74: 7E8A4145
	v_mfma_f32_32x32x16_bf16 v[144:159], v[240:243], v[32:35], v[144:159]// 000000004A78: D3B70090 064241F0
	v_exp_f32_e32 v70, v70                                     // 000000004A80: 7E8C4146
	v_exp_f32_e32 v71, v71                                     // 000000004A84: 7E8E4147
	v_exp_f32_e32 v72, v72                                     // 000000004A88: 7E904148
	v_mfma_f32_32x32x16_bf16 v[144:159], v[244:247], v[36:39], v[144:159]// 000000004A8C: D3B70090 064249F4
	v_exp_f32_e32 v73, v73                                     // 000000004A94: 7E924149
	v_exp_f32_e32 v74, v74                                     // 000000004A98: 7E94414A
	v_exp_f32_e32 v75, v75                                     // 000000004A9C: 7E96414B
	v_mfma_f32_32x32x16_bf16 v[144:159], v[248:251], v[40:43], v[144:159]// 000000004AA0: D3B70090 064251F8
	v_exp_f32_e32 v76, v76                                     // 000000004AA8: 7E98414C
	v_exp_f32_e32 v77, v77                                     // 000000004AAC: 7E9A414D
	v_exp_f32_e32 v78, v78                                     // 000000004AB0: 7E9C414E
	v_mfma_f32_32x32x16_bf16 v[144:159], v[252:255], v[44:47], v[144:159]// 000000004AB4: D3B70090 064259FC
	v_exp_f32_e32 v79, v79                                     // 000000004ABC: 7E9E414F
	v_exp_f32_e32 v80, v80                                     // 000000004AC0: 7EA04150
	v_exp_f32_e32 v81, v81                                     // 000000004AC4: 7EA24151
	s_nop 0                                                    // 000000004AC8: BF800000
	v_mov_b32_e32 v17, v16                                     // 000000004ACC: 7E220310
	v_mul_f32_e32 v110, v16, v110                              // 000000004AD0: 0ADCDD10
	v_mul_f32_e32 v111, v16, v111                              // 000000004AD4: 0ADEDF10
	v_pk_mul_f32 v[112:113], v[16:17], v[112:113]              // 000000004AD8: D3B14070 1802E110
	v_pk_mul_f32 v[114:115], v[16:17], v[114:115]              // 000000004AE0: D3B14072 1802E510
	v_pk_mul_f32 v[116:117], v[16:17], v[116:117]              // 000000004AE8: D3B14074 1802E910
	v_pk_mul_f32 v[118:119], v[16:17], v[118:119]              // 000000004AF0: D3B14076 1802ED10
	v_pk_mul_f32 v[120:121], v[16:17], v[120:121]              // 000000004AF8: D3B14078 1802F110
	v_pk_mul_f32 v[122:123], v[16:17], v[122:123]              // 000000004B00: D3B1407A 1802F510
	v_pk_mul_f32 v[124:125], v[16:17], v[124:125]              // 000000004B08: D3B1407C 1802F910
	v_pk_mul_f32 v[126:127], v[16:17], v[126:127]              // 000000004B10: D3B1407E 1802FD10
	v_pk_mul_f32 v[128:129], v[16:17], v[128:129]              // 000000004B18: D3B14080 18030110
	v_pk_mul_f32 v[130:131], v[16:17], v[130:131]              // 000000004B20: D3B14082 18030510
	v_pk_mul_f32 v[132:133], v[16:17], v[132:133]              // 000000004B28: D3B14084 18030910
	v_pk_mul_f32 v[134:135], v[16:17], v[134:135]              // 000000004B30: D3B14086 18030D10
	v_pk_mul_f32 v[136:137], v[16:17], v[136:137]              // 000000004B38: D3B14088 18031110
	v_pk_mul_f32 v[138:139], v[16:17], v[138:139]              // 000000004B40: D3B1408A 18031510
	v_pk_mul_f32 v[140:141], v[16:17], v[140:141]              // 000000004B48: D3B1408C 18031910
	v_pk_mul_f32 v[142:143], v[16:17], v[142:143]              // 000000004B50: D3B1408E 18031D10
	v_pk_mul_f32 v[144:145], v[16:17], v[144:145]              // 000000004B58: D3B14090 18032110
	v_pk_mul_f32 v[146:147], v[16:17], v[146:147]              // 000000004B60: D3B14092 18032510
	v_pk_mul_f32 v[148:149], v[16:17], v[148:149]              // 000000004B68: D3B14094 18032910
	v_pk_mul_f32 v[150:151], v[16:17], v[150:151]              // 000000004B70: D3B14096 18032D10
	v_pk_mul_f32 v[152:153], v[16:17], v[152:153]              // 000000004B78: D3B14098 18033110
	v_pk_mul_f32 v[154:155], v[16:17], v[154:155]              // 000000004B80: D3B1409A 18033510
	v_pk_mul_f32 v[156:157], v[16:17], v[156:157]              // 000000004B88: D3B1409C 18033910
	v_pk_mul_f32 v[158:159], v[16:17], v[158:159]              // 000000004B90: D3B1409E 18033D10
	s_waitcnt vmcnt(4)                                         // 000000004B98: BF8C0F74
	s_barrier                                                  // 000000004B9C: BF8A0000
	s_nop 15                                                   // 000000004BA0: BF80000F
	s_nop 7                                                    // 000000004BA4: BF800007
	s_mov_b32 m0, s66                                          // 000000004BA8: BEFC0042
	buffer_load_dwordx4 v6, s[16:19], s35 offen lds            // 000000004BAC: E05D1000 23040006
	s_add_u32 m0, 0x2200, m0                                   // 000000004BB4: 807C7CFF 00002200
	buffer_load_dwordx4 v7, s[16:19], s35 offen lds            // 000000004BBC: E05D1000 23040007
	s_add_u32 m0, 0x2200, m0                                   // 000000004BC4: 807C7CFF 00002200
	s_add_i32 s35, s44, s35                                    // 000000004BCC: 8123232C
	s_nop 0                                                    // 000000004BD0: BF800000
	s_add_u32 s40, 0xc0, s39                                   // 000000004BD4: 802827FF 000000C0
	s_nop 0                                                    // 000000004BDC: BF800000
	s_cmp_lt_u32 s40, s38                                      // 000000004BE0: BF0A2628
	s_cselect_b32 s44, s44, 0                                  // 000000004BE4: 852C802C
	s_nop 15                                                   // 000000004BE8: BF80000F
	s_nop 15                                                   // 000000004BEC: BF80000F
	s_nop 7                                                    // 000000004BF0: BF800007
	ds_read_b128 v[192:195], v8                                // 000000004BF4: D9FE0000 C0000008
	ds_read_b128 v[208:211], v8 offset:512                     // 000000004BFC: D9FE0200 D0000008
	ds_read_b128 v[196:199], v8 offset:32                      // 000000004C04: D9FE0020 C4000008
	ds_read_b128 v[212:215], v8 offset:544                     // 000000004C0C: D9FE0220 D4000008
	ds_read_b128 v[200:203], v8 offset:64                      // 000000004C14: D9FE0040 C8000008
	ds_read_b128 v[216:219], v8 offset:576                     // 000000004C1C: D9FE0240 D8000008
	ds_read_b128 v[204:207], v8 offset:96                      // 000000004C24: D9FE0060 CC000008
	ds_read_b128 v[220:223], v8 offset:608                     // 000000004C2C: D9FE0260 DC000008
	ds_read_b128 v[224:227], v8 offset:8320                    // 000000004C34: D9FE2080 E0000008
	ds_read_b128 v[240:243], v8 offset:8832                    // 000000004C3C: D9FE2280 F0000008
	ds_read_b128 v[228:231], v8 offset:8352                    // 000000004C44: D9FE20A0 E4000008
	ds_read_b128 v[244:247], v8 offset:8864                    // 000000004C4C: D9FE22A0 F4000008
	ds_read_b128 v[232:235], v8 offset:8384                    // 000000004C54: D9FE20C0 E8000008
	ds_read_b128 v[248:251], v8 offset:8896                    // 000000004C5C: D9FE22C0 F8000008
	ds_read_b128 v[236:239], v8 offset:8416                    // 000000004C64: D9FE20E0 EC000008
	ds_read_b128 v[252:255], v8 offset:8928                    // 000000004C6C: D9FE22E0 FC000008
	s_add_i32 s52, s52, s53                                    // 000000004C74: 81343534
	s_addk_i32 s39, 0x40                                       // 000000004C78: B7270040
	s_cmp_lt_i32 s39, s38                                      // 000000004C7C: BF042627
	s_cbranch_scc0 label_0D94                                  // 000000004C80: BF840733
	s_waitcnt lgkmcnt(0)                                       // 000000004C84: BF8CC07F
	v_nop                                                      // 000000004C88: 7E000000
	v_mfma_f32_32x32x16_bf16 v[32:47], v[192:195], v[160:163], 0// 000000004C8C: D3B70020 020341C0
	v_exp_f32_e32 v82, v82                                     // 000000004C94: 7EA44152
	v_exp_f32_e32 v83, v83                                     // 000000004C98: 7EA64153
	v_exp_f32_e32 v84, v84                                     // 000000004C9C: 7EA84154
	v_mfma_f32_32x32x16_bf16 v[32:47], v[196:199], v[164:167], v[32:47]// 000000004CA0: D3B70020 048349C4
	v_exp_f32_e32 v85, v85                                     // 000000004CA8: 7EAA4155
	v_exp_f32_e32 v86, v86                                     // 000000004CAC: 7EAC4156
	v_exp_f32_e32 v87, v87                                     // 000000004CB0: 7EAE4157
	v_mfma_f32_32x32x16_bf16 v[32:47], v[200:203], v[168:171], v[32:47]// 000000004CB4: D3B70020 048351C8
	v_exp_f32_e32 v88, v88                                     // 000000004CBC: 7EB04158
	v_exp_f32_e32 v89, v89                                     // 000000004CC0: 7EB24159
	v_exp_f32_e32 v90, v90                                     // 000000004CC4: 7EB4415A
	v_mfma_f32_32x32x16_bf16 v[32:47], v[204:207], v[172:175], v[32:47]// 000000004CC8: D3B70020 048359CC
	v_exp_f32_e32 v91, v91                                     // 000000004CD0: 7EB6415B
	v_exp_f32_e32 v92, v92                                     // 000000004CD4: 7EB8415C
	v_exp_f32_e32 v93, v93                                     // 000000004CD8: 7EBA415D
	v_mfma_f32_32x32x16_bf16 v[32:47], v[224:227], v[176:179], v[32:47]// 000000004CDC: D3B70020 048361E0
	v_exp_f32_e32 v94, v94                                     // 000000004CE4: 7EBC415E
	v_exp_f32_e32 v95, v95                                     // 000000004CE8: 7EBE415F
	v_mul_f32_e32 v18, v16, v18                                // 000000004CEC: 0A242510
	v_add_f32_e32 v19, v65, v64                                // 000000004CF0: 02268141
	v_mfma_f32_32x32x16_bf16 v[32:47], v[228:231], v[180:183], v[32:47]// 000000004CF4: D3B70020 048369E4
	v_add_f32_e32 v19, v66, v19                                // 000000004CFC: 02262742
	v_add_f32_e32 v19, v67, v19                                // 000000004D00: 02262743
	v_add_f32_e32 v19, v68, v19                                // 000000004D04: 02262744
	v_add_f32_e32 v19, v69, v19                                // 000000004D08: 02262745
	v_add_f32_e32 v19, v70, v19                                // 000000004D0C: 02262746
	v_add_f32_e32 v19, v71, v19                                // 000000004D10: 02262747
	v_mfma_f32_32x32x16_bf16 v[32:47], v[232:235], v[184:187], v[32:47]// 000000004D14: D3B70020 048371E8
	v_add_f32_e32 v19, v72, v19                                // 000000004D1C: 02262748
	v_add_f32_e32 v19, v73, v19                                // 000000004D20: 02262749
	v_add_f32_e32 v19, v74, v19                                // 000000004D24: 0226274A
	v_add_f32_e32 v19, v75, v19                                // 000000004D28: 0226274B
	v_add_f32_e32 v19, v76, v19                                // 000000004D2C: 0226274C
	v_add_f32_e32 v19, v77, v19                                // 000000004D30: 0226274D
	v_mfma_f32_32x32x16_bf16 v[32:47], v[236:239], v[188:191], v[32:47]// 000000004D34: D3B70020 048379EC
	v_add_f32_e32 v19, v78, v19                                // 000000004D3C: 0226274E
	v_add_f32_e32 v19, v79, v19                                // 000000004D40: 0226274F
	v_add_f32_e32 v19, v80, v19                                // 000000004D44: 02262750
	v_add_f32_e32 v19, v81, v19                                // 000000004D48: 02262751
	v_add_f32_e32 v19, v82, v19                                // 000000004D4C: 02262752
	v_add_f32_e32 v19, v83, v19                                // 000000004D50: 02262753
	v_mfma_f32_32x32x16_bf16 v[48:63], v[208:211], v[160:163], 0// 000000004D54: D3B70030 020341D0
	v_add_f32_e32 v19, v84, v19                                // 000000004D5C: 02262754
	v_add_f32_e32 v19, v85, v19                                // 000000004D60: 02262755
	v_add_f32_e32 v19, v86, v19                                // 000000004D64: 02262756
	v_add_f32_e32 v19, v87, v19                                // 000000004D68: 02262757
	v_add_f32_e32 v19, v88, v19                                // 000000004D6C: 02262758
	v_add_f32_e32 v19, v89, v19                                // 000000004D70: 02262759
	v_mfma_f32_32x32x16_bf16 v[48:63], v[212:215], v[164:167], v[48:63]// 000000004D74: D3B70030 04C349D4
	v_add_f32_e32 v19, v90, v19                                // 000000004D7C: 0226275A
	v_add_f32_e32 v19, v91, v19                                // 000000004D80: 0226275B
	v_add_f32_e32 v19, v92, v19                                // 000000004D84: 0226275C
	v_add_f32_e32 v19, v93, v19                                // 000000004D88: 0226275D
	v_add_f32_e32 v19, v94, v19                                // 000000004D8C: 0226275E
	v_add_f32_e32 v19, v95, v19                                // 000000004D90: 0226275F
	v_mfma_f32_32x32x16_bf16 v[48:63], v[216:219], v[168:171], v[48:63]// 000000004D94: D3B70030 04C351D8
	v_mov_b32_e32 v20, v19                                     // 000000004D9C: 7E280313
	v_mul_f32_e32 v96, v16, v96                                // 000000004DA0: 0AC0C110
	v_mul_f32_e32 v97, v16, v97                                // 000000004DA4: 0AC2C310
	v_permlane32_swap_b32_e32 v20, v19                         // 000000004DA8: 7E28B513
	v_add_f32_e32 v20, v20, v19                                // 000000004DAC: 02282714
	v_mfma_f32_32x32x16_bf16 v[48:63], v[220:223], v[172:175], v[48:63]// 000000004DB0: D3B70030 04C359DC
	v_add_f32_e32 v18, v20, v18                                // 000000004DB8: 02242514
	v_mul_f32_e32 v98, v16, v98                                // 000000004DBC: 0AC4C510
	v_mul_f32_e32 v99, v16, v99                                // 000000004DC0: 0AC6C710
	v_mul_f32_e32 v100, v16, v100                              // 000000004DC4: 0AC8C910
	v_mul_f32_e32 v101, v16, v101                              // 000000004DC8: 0ACACB10
	v_mul_f32_e32 v102, v16, v102                              // 000000004DCC: 0ACCCD10
	v_mfma_f32_32x32x16_bf16 v[48:63], v[240:243], v[176:179], v[48:63]// 000000004DD0: D3B70030 04C361F0
	v_mul_f32_e32 v103, v16, v103                              // 000000004DD8: 0ACECF10
	v_mul_f32_e32 v104, v16, v104                              // 000000004DDC: 0AD0D110
	v_mul_f32_e32 v105, v16, v105                              // 000000004DE0: 0AD2D310
	v_mul_f32_e32 v106, v16, v106                              // 000000004DE4: 0AD4D510
	v_mul_f32_e32 v107, v16, v107                              // 000000004DE8: 0AD6D710
	v_mul_f32_e32 v108, v16, v108                              // 000000004DEC: 0AD8D910
	v_mfma_f32_32x32x16_bf16 v[48:63], v[244:247], v[180:183], v[48:63]// 000000004DF0: D3B70030 04C369F4
	v_mul_f32_e32 v109, v16, v109                              // 000000004DF8: 0ADADB10
	v_cvt_pk_bf16_f32 v64, v64, v65                            // 000000004DFC: D2680040 00028340
	v_cvt_pk_bf16_f32 v65, v66, v67                            // 000000004E04: D2680041 00028742
	v_cvt_pk_bf16_f32 v66, v68, v69                            // 000000004E0C: D2680042 00028B44
	v_cvt_pk_bf16_f32 v67, v70, v71                            // 000000004E14: D2680043 00028F46
	v_cvt_pk_bf16_f32 v68, v72, v73                            // 000000004E1C: D2680044 00029348
	v_mfma_f32_32x32x16_bf16 v[48:63], v[248:251], v[184:187], v[48:63]// 000000004E24: D3B70030 04C371F8
	v_cvt_pk_bf16_f32 v69, v74, v75                            // 000000004E2C: D2680045 0002974A
	v_cvt_pk_bf16_f32 v70, v76, v77                            // 000000004E34: D2680046 00029B4C
	v_cvt_pk_bf16_f32 v71, v78, v79                            // 000000004E3C: D2680047 00029F4E
	v_cvt_pk_bf16_f32 v72, v80, v81                            // 000000004E44: D2680048 0002A350
	v_cvt_pk_bf16_f32 v73, v82, v83                            // 000000004E4C: D2680049 0002A752
	v_cvt_pk_bf16_f32 v74, v84, v85                            // 000000004E54: D268004A 0002AB54
	v_mfma_f32_32x32x16_bf16 v[48:63], v[252:255], v[188:191], v[48:63]// 000000004E5C: D3B70030 04C379FC
	v_cvt_pk_bf16_f32 v75, v86, v87                            // 000000004E64: D268004B 0002AF56
	v_cvt_pk_bf16_f32 v76, v88, v89                            // 000000004E6C: D268004C 0002B358
	v_cvt_pk_bf16_f32 v77, v90, v91                            // 000000004E74: D268004D 0002B75A
	v_cvt_pk_bf16_f32 v78, v92, v93                            // 000000004E7C: D268004E 0002BB5C
	v_cvt_pk_bf16_f32 v79, v94, v95                            // 000000004E84: D268004F 0002BF5E
	s_waitcnt vmcnt(4)                                         // 000000004E8C: BF8C0F74
	s_barrier                                                  // 000000004E90: BF8A0000
	s_mov_b32 m0, s64                                          // 000000004E94: BEFC0040
	buffer_load_dwordx4 v4, s[12:15], s34 offen lds            // 000000004E98: E05D1000 22030004
	s_add_u32 m0, 0x2080, m0                                   // 000000004EA0: 807C7CFF 00002080
	buffer_load_dwordx4 v5, s[12:15], s34 offen lds            // 000000004EA8: E05D1000 22030005
	s_add_u32 m0, 0x2080, m0                                   // 000000004EB0: 807C7CFF 00002080
	s_add_i32 s34, s43, s34                                    // 000000004EB8: 8122222B
	s_nop 0                                                    // 000000004EBC: BF800000
	s_add_u32 s40, 0x100, s39                                  // 000000004EC0: 802827FF 00000100
	s_nop 0                                                    // 000000004EC8: BF800000
	s_cmp_lt_u32 s40, s38                                      // 000000004ECC: BF0A2628
	s_cselect_b32 s43, s43, 0                                  // 000000004ED0: 852B802B
	ds_read_b64_tr_b16 v[192:193], v11                         // 000000004ED4: D9C60000 C000000B
	ds_read_b64_tr_b16 v[194:195], v11 offset:512              // 000000004EDC: D9C60200 C200000B
	ds_read_b64_tr_b16 v[208:209], v11 offset:64               // 000000004EE4: D9C60040 D000000B
	ds_read_b64_tr_b16 v[210:211], v11 offset:576              // 000000004EEC: D9C60240 D200000B
	ds_read_b64_tr_b16 v[196:197], v11 offset:2176             // 000000004EF4: D9C60880 C400000B
	ds_read_b64_tr_b16 v[198:199], v11 offset:2688             // 000000004EFC: D9C60A80 C600000B
	ds_read_b64_tr_b16 v[212:213], v11 offset:2240             // 000000004F04: D9C608C0 D400000B
	ds_read_b64_tr_b16 v[214:215], v11 offset:2752             // 000000004F0C: D9C60AC0 D600000B
	ds_read_b64_tr_b16 v[200:201], v11 offset:4352             // 000000004F14: D9C61100 C800000B
	ds_read_b64_tr_b16 v[202:203], v11 offset:4864             // 000000004F1C: D9C61300 CA00000B
	ds_read_b64_tr_b16 v[216:217], v11 offset:4416             // 000000004F24: D9C61140 D800000B
	ds_read_b64_tr_b16 v[218:219], v11 offset:4928             // 000000004F2C: D9C61340 DA00000B
	ds_read_b64_tr_b16 v[204:205], v11 offset:6528             // 000000004F34: D9C61980 CC00000B
	ds_read_b64_tr_b16 v[206:207], v11 offset:7040             // 000000004F3C: D9C61B80 CE00000B
	ds_read_b64_tr_b16 v[220:221], v11 offset:6592             // 000000004F44: D9C619C0 DC00000B
	ds_read_b64_tr_b16 v[222:223], v11 offset:7104             // 000000004F4C: D9C61BC0 DE00000B
	ds_read_b64_tr_b16 v[224:225], v11 offset:8704             // 000000004F54: D9C62200 E000000B
	ds_read_b64_tr_b16 v[226:227], v11 offset:9216             // 000000004F5C: D9C62400 E200000B
	ds_read_b64_tr_b16 v[240:241], v11 offset:8768             // 000000004F64: D9C62240 F000000B
	ds_read_b64_tr_b16 v[242:243], v11 offset:9280             // 000000004F6C: D9C62440 F200000B
	ds_read_b64_tr_b16 v[228:229], v11 offset:10880            // 000000004F74: D9C62A80 E400000B
	ds_read_b64_tr_b16 v[230:231], v11 offset:11392            // 000000004F7C: D9C62C80 E600000B
	ds_read_b64_tr_b16 v[244:245], v11 offset:10944            // 000000004F84: D9C62AC0 F400000B
	ds_read_b64_tr_b16 v[246:247], v11 offset:11456            // 000000004F8C: D9C62CC0 F600000B
	ds_read_b64_tr_b16 v[232:233], v11 offset:13056            // 000000004F94: D9C63300 E800000B
	ds_read_b64_tr_b16 v[234:235], v11 offset:13568            // 000000004F9C: D9C63500 EA00000B
	ds_read_b64_tr_b16 v[248:249], v11 offset:13120            // 000000004FA4: D9C63340 F800000B
	ds_read_b64_tr_b16 v[250:251], v11 offset:13632            // 000000004FAC: D9C63540 FA00000B
	ds_read_b64_tr_b16 v[236:237], v11 offset:15232            // 000000004FB4: D9C63B80 EC00000B
	ds_read_b64_tr_b16 v[238:239], v11 offset:15744            // 000000004FBC: D9C63D80 EE00000B
	ds_read_b64_tr_b16 v[252:253], v11 offset:15296            // 000000004FC4: D9C63BC0 FC00000B
	ds_read_b64_tr_b16 v[254:255], v11 offset:15808            // 000000004FCC: D9C63DC0 FE00000B
	s_cmp_lt_i32 s52, s54                                      // 000000004FD4: BF043634
	s_cbranch_scc1 label_07BA                                  // 000000004FD8: BF850083
	s_sub_i32 s40, s7, s52                                     // 000000004FDC: 81A83407
	v_sub_i32 v12, s40, v26                                    // 000000004FE0: D29D000C 00023428
	v_cmp_lt_i32_e64 s[68:69], 0, v12                          // 000000004FE8: D0C10044 00021880
	v_cmp_lt_i32_e64 s[70:71], 1, v12                          // 000000004FF0: D0C10046 00021881
	v_cndmask_b32_e64 v32, v27, v32, s[68:69]                  // 000000004FF8: D1000020 0112411B
	v_cndmask_b32_e64 v33, v27, v33, s[70:71]                  // 000000005000: D1000021 011A431B
	v_cmp_lt_i32_e64 s[68:69], 2, v12                          // 000000005008: D0C10044 00021882
	v_cmp_lt_i32_e64 s[70:71], 3, v12                          // 000000005010: D0C10046 00021883
	v_cndmask_b32_e64 v34, v27, v34, s[68:69]                  // 000000005018: D1000022 0112451B
	v_cndmask_b32_e64 v35, v27, v35, s[70:71]                  // 000000005020: D1000023 011A471B
	v_cmp_lt_i32_e64 s[68:69], 8, v12                          // 000000005028: D0C10044 00021888
	v_cmp_lt_i32_e64 s[70:71], 9, v12                          // 000000005030: D0C10046 00021889
	v_cndmask_b32_e64 v36, v27, v36, s[68:69]                  // 000000005038: D1000024 0112491B
	v_cndmask_b32_e64 v37, v27, v37, s[70:71]                  // 000000005040: D1000025 011A4B1B
	v_cmp_lt_i32_e64 s[68:69], 10, v12                         // 000000005048: D0C10044 0002188A
	v_cmp_lt_i32_e64 s[70:71], 11, v12                         // 000000005050: D0C10046 0002188B
	v_cndmask_b32_e64 v38, v27, v38, s[68:69]                  // 000000005058: D1000026 01124D1B
	v_cndmask_b32_e64 v39, v27, v39, s[70:71]                  // 000000005060: D1000027 011A4F1B
	v_cmp_lt_i32_e64 s[68:69], 16, v12                         // 000000005068: D0C10044 00021890
	v_cmp_lt_i32_e64 s[70:71], 17, v12                         // 000000005070: D0C10046 00021891
	v_cndmask_b32_e64 v40, v27, v40, s[68:69]                  // 000000005078: D1000028 0112511B
	v_cndmask_b32_e64 v41, v27, v41, s[70:71]                  // 000000005080: D1000029 011A531B
	v_cmp_lt_i32_e64 s[68:69], 18, v12                         // 000000005088: D0C10044 00021892
	v_cmp_lt_i32_e64 s[70:71], 19, v12                         // 000000005090: D0C10046 00021893
	v_cndmask_b32_e64 v42, v27, v42, s[68:69]                  // 000000005098: D100002A 0112551B
	v_cndmask_b32_e64 v43, v27, v43, s[70:71]                  // 0000000050A0: D100002B 011A571B
	v_cmp_lt_i32_e64 s[68:69], 24, v12                         // 0000000050A8: D0C10044 00021898
	v_cmp_lt_i32_e64 s[70:71], 25, v12                         // 0000000050B0: D0C10046 00021899
	v_cndmask_b32_e64 v44, v27, v44, s[68:69]                  // 0000000050B8: D100002C 0112591B
	v_cndmask_b32_e64 v45, v27, v45, s[70:71]                  // 0000000050C0: D100002D 011A5B1B
	v_cmp_lt_i32_e64 s[68:69], 26, v12                         // 0000000050C8: D0C10044 0002189A
	v_cmp_lt_i32_e64 s[70:71], 27, v12                         // 0000000050D0: D0C10046 0002189B
	v_cndmask_b32_e64 v46, v27, v46, s[68:69]                  // 0000000050D8: D100002E 01125D1B
	v_cndmask_b32_e64 v47, v27, v47, s[70:71]                  // 0000000050E0: D100002F 011A5F1B
	v_cmp_lt_i32_e64 s[68:69], 32, v12                         // 0000000050E8: D0C10044 000218A0
	v_cmp_lt_i32_e64 s[70:71], 33, v12                         // 0000000050F0: D0C10046 000218A1
	v_cndmask_b32_e64 v48, v27, v48, s[68:69]                  // 0000000050F8: D1000030 0112611B
	v_cndmask_b32_e64 v49, v27, v49, s[70:71]                  // 000000005100: D1000031 011A631B
	v_cmp_lt_i32_e64 s[68:69], 34, v12                         // 000000005108: D0C10044 000218A2
	v_cmp_lt_i32_e64 s[70:71], 35, v12                         // 000000005110: D0C10046 000218A3
	v_cndmask_b32_e64 v50, v27, v50, s[68:69]                  // 000000005118: D1000032 0112651B
	v_cndmask_b32_e64 v51, v27, v51, s[70:71]                  // 000000005120: D1000033 011A671B
	v_cmp_lt_i32_e64 s[68:69], 40, v12                         // 000000005128: D0C10044 000218A8
	v_cmp_lt_i32_e64 s[70:71], 41, v12                         // 000000005130: D0C10046 000218A9
	v_cndmask_b32_e64 v52, v27, v52, s[68:69]                  // 000000005138: D1000034 0112691B
	v_cndmask_b32_e64 v53, v27, v53, s[70:71]                  // 000000005140: D1000035 011A6B1B
	v_cmp_lt_i32_e64 s[68:69], 42, v12                         // 000000005148: D0C10044 000218AA
	v_cmp_lt_i32_e64 s[70:71], 43, v12                         // 000000005150: D0C10046 000218AB
	v_cndmask_b32_e64 v54, v27, v54, s[68:69]                  // 000000005158: D1000036 01126D1B
	v_cndmask_b32_e64 v55, v27, v55, s[70:71]                  // 000000005160: D1000037 011A6F1B
	v_cmp_lt_i32_e64 s[68:69], 48, v12                         // 000000005168: D0C10044 000218B0
	v_cmp_lt_i32_e64 s[70:71], 49, v12                         // 000000005170: D0C10046 000218B1
	v_cndmask_b32_e64 v56, v27, v56, s[68:69]                  // 000000005178: D1000038 0112711B
	v_cndmask_b32_e64 v57, v27, v57, s[70:71]                  // 000000005180: D1000039 011A731B
	v_cmp_lt_i32_e64 s[68:69], 50, v12                         // 000000005188: D0C10044 000218B2
	v_cmp_lt_i32_e64 s[70:71], 51, v12                         // 000000005190: D0C10046 000218B3
	v_cndmask_b32_e64 v58, v27, v58, s[68:69]                  // 000000005198: D100003A 0112751B
	v_cndmask_b32_e64 v59, v27, v59, s[70:71]                  // 0000000051A0: D100003B 011A771B
	v_cmp_lt_i32_e64 s[68:69], 56, v12                         // 0000000051A8: D0C10044 000218B8
	v_cmp_lt_i32_e64 s[70:71], 57, v12                         // 0000000051B0: D0C10046 000218B9
	v_cndmask_b32_e64 v60, v27, v60, s[68:69]                  // 0000000051B8: D100003C 0112791B
	v_cndmask_b32_e64 v61, v27, v61, s[70:71]                  // 0000000051C0: D100003D 011A7B1B
	v_cmp_lt_i32_e64 s[68:69], 58, v12                         // 0000000051C8: D0C10044 000218BA
	v_cmp_lt_i32_e64 s[70:71], 59, v12                         // 0000000051D0: D0C10046 000218BB
	v_cndmask_b32_e64 v62, v27, v62, s[68:69]                  // 0000000051D8: D100003E 01127D1B
	v_cndmask_b32_e64 v63, v27, v63, s[70:71]                  // 0000000051E0: D100003F 011A7F1B

00000000000051e8 <label_07BA>:
	s_nop 0                                                    // 0000000051E8: BF800000
	s_nop 0                                                    // 0000000051EC: BF800000
	s_nop 0                                                    // 0000000051F0: BF800000
	s_waitcnt lgkmcnt(0)                                       // 0000000051F4: BF8CC07F
	s_barrier                                                  // 0000000051F8: BF8A0000
	v_mfma_f32_32x32x16_bf16 v[96:111], v[192:195], v[64:67], v[96:111]// 0000000051FC: D3B70060 058281C0
	v_mov_b32_e32 v21, v24                                     // 000000005204: 7E2A0318
	v_max3_f32 v21, v32, v33, v21                              // 000000005208: D1D30015 04564320
	v_max3_f32 v21, v34, v35, v21                              // 000000005210: D1D30015 04564722
	v_max3_f32 v21, v36, v37, v21                              // 000000005218: D1D30015 04564B24
	v_max3_f32 v21, v38, v39, v21                              // 000000005220: D1D30015 04564F26
	v_max3_f32 v21, v40, v41, v21                              // 000000005228: D1D30015 04565328
	v_mfma_f32_32x32x16_bf16 v[96:111], v[196:199], v[68:71], v[96:111]// 000000005230: D3B70060 058289C4
	v_max3_f32 v21, v42, v43, v21                              // 000000005238: D1D30015 0456572A
	v_max3_f32 v21, v44, v45, v21                              // 000000005240: D1D30015 04565B2C
	v_max3_f32 v21, v46, v47, v21                              // 000000005248: D1D30015 04565F2E
	v_max3_f32 v21, v48, v49, v21                              // 000000005250: D1D30015 04566330
	v_max3_f32 v21, v50, v51, v21                              // 000000005258: D1D30015 04566732
	v_max3_f32 v21, v52, v53, v21                              // 000000005260: D1D30015 04566B34
	v_mfma_f32_32x32x16_bf16 v[96:111], v[200:203], v[72:75], v[96:111]// 000000005268: D3B70060 058291C8
	v_max3_f32 v21, v54, v55, v21                              // 000000005270: D1D30015 04566F36
	v_max3_f32 v21, v56, v57, v21                              // 000000005278: D1D30015 04567338
	v_max3_f32 v21, v58, v59, v21                              // 000000005280: D1D30015 0456773A
	v_max3_f32 v21, v60, v61, v21                              // 000000005288: D1D30015 04567B3C
	v_max3_f32 v21, v62, v63, v21                              // 000000005290: D1D30015 04567F3E
	v_mov_b32_e32 v20, v21                                     // 000000005298: 7E280315
	v_mfma_f32_32x32x16_bf16 v[96:111], v[204:207], v[76:79], v[96:111]// 00000000529C: D3B70060 058299CC
	v_nop                                                      // 0000000052A4: 7E000000
	v_nop                                                      // 0000000052A8: 7E000000
	v_permlane32_swap_b32_e32 v20, v21                         // 0000000052AC: 7E28B515
	v_max_f32_e32 v21, v20, v21                                // 0000000052B0: 162A2B14
	v_sub_f32_e32 v16, v24, v21                                // 0000000052B4: 04202B18
	v_mfma_f32_32x32x16_bf16 v[112:127], v[208:211], v[64:67], v[112:127]// 0000000052B8: D3B70070 05C281D0
	v_mov_b32_e32 v24, v21                                     // 0000000052C0: 7E300315
	v_mul_f32_e32 v23, s37, v21                                // 0000000052C4: 0A2E2A25
	v_mul_f32_e32 v16, s37, v16                                // 0000000052C8: 0A202025
	v_exp_f32_e32 v16, v16                                     // 0000000052CC: 7E204110
	v_fma_f32 v32, v32, s37, -v23                              // 0000000052D0: D1CB0020 845C4B20
	v_mfma_f32_32x32x16_bf16 v[112:127], v[212:215], v[68:71], v[112:127]// 0000000052D8: D3B70070 05C289D4
	v_fma_f32 v33, v33, s37, -v23                              // 0000000052E0: D1CB0021 845C4B21
	v_fma_f32 v34, v34, s37, -v23                              // 0000000052E8: D1CB0022 845C4B22
	v_fma_f32 v35, v35, s37, -v23                              // 0000000052F0: D1CB0023 845C4B23
	v_fma_f32 v36, v36, s37, -v23                              // 0000000052F8: D1CB0024 845C4B24
	v_fma_f32 v37, v37, s37, -v23                              // 000000005300: D1CB0025 845C4B25
	v_fma_f32 v38, v38, s37, -v23                              // 000000005308: D1CB0026 845C4B26
	v_mfma_f32_32x32x16_bf16 v[112:127], v[216:219], v[72:75], v[112:127]// 000000005310: D3B70070 05C291D8
	v_fma_f32 v39, v39, s37, -v23                              // 000000005318: D1CB0027 845C4B27
	v_fma_f32 v40, v40, s37, -v23                              // 000000005320: D1CB0028 845C4B28
	v_fma_f32 v41, v41, s37, -v23                              // 000000005328: D1CB0029 845C4B29
	v_fma_f32 v42, v42, s37, -v23                              // 000000005330: D1CB002A 845C4B2A
	v_fma_f32 v43, v43, s37, -v23                              // 000000005338: D1CB002B 845C4B2B
	v_fma_f32 v44, v44, s37, -v23                              // 000000005340: D1CB002C 845C4B2C
	v_mfma_f32_32x32x16_bf16 v[112:127], v[220:223], v[76:79], v[112:127]// 000000005348: D3B70070 05C299DC
	v_fma_f32 v45, v45, s37, -v23                              // 000000005350: D1CB002D 845C4B2D
	v_fma_f32 v46, v46, s37, -v23                              // 000000005358: D1CB002E 845C4B2E
	v_fma_f32 v47, v47, s37, -v23                              // 000000005360: D1CB002F 845C4B2F
	v_fma_f32 v48, v48, s37, -v23                              // 000000005368: D1CB0030 845C4B30
	v_fma_f32 v49, v49, s37, -v23                              // 000000005370: D1CB0031 845C4B31
	v_fma_f32 v50, v50, s37, -v23                              // 000000005378: D1CB0032 845C4B32
	v_mfma_f32_32x32x16_bf16 v[128:143], v[224:227], v[64:67], v[128:143]// 000000005380: D3B70080 060281E0
	v_fma_f32 v51, v51, s37, -v23                              // 000000005388: D1CB0033 845C4B33
	v_fma_f32 v52, v52, s37, -v23                              // 000000005390: D1CB0034 845C4B34
	v_fma_f32 v53, v53, s37, -v23                              // 000000005398: D1CB0035 845C4B35
	v_fma_f32 v54, v54, s37, -v23                              // 0000000053A0: D1CB0036 845C4B36
	v_fma_f32 v55, v55, s37, -v23                              // 0000000053A8: D1CB0037 845C4B37
	v_fma_f32 v56, v56, s37, -v23                              // 0000000053B0: D1CB0038 845C4B38
	v_mfma_f32_32x32x16_bf16 v[128:143], v[228:231], v[68:71], v[128:143]// 0000000053B8: D3B70080 060289E4
	v_fma_f32 v57, v57, s37, -v23                              // 0000000053C0: D1CB0039 845C4B39
	v_fma_f32 v58, v58, s37, -v23                              // 0000000053C8: D1CB003A 845C4B3A
	v_fma_f32 v59, v59, s37, -v23                              // 0000000053D0: D1CB003B 845C4B3B
	v_fma_f32 v60, v60, s37, -v23                              // 0000000053D8: D1CB003C 845C4B3C
	v_fma_f32 v61, v61, s37, -v23                              // 0000000053E0: D1CB003D 845C4B3D
	v_fma_f32 v62, v62, s37, -v23                              // 0000000053E8: D1CB003E 845C4B3E
	v_mfma_f32_32x32x16_bf16 v[128:143], v[232:235], v[72:75], v[128:143]// 0000000053F0: D3B70080 060291E8
	v_fma_f32 v63, v63, s37, -v23                              // 0000000053F8: D1CB003F 845C4B3F
	v_exp_f32_e32 v32, v32                                     // 000000005400: 7E404120
	v_exp_f32_e32 v33, v33                                     // 000000005404: 7E424121
	v_exp_f32_e32 v34, v34                                     // 000000005408: 7E444122
	v_mfma_f32_32x32x16_bf16 v[128:143], v[236:239], v[76:79], v[128:143]// 00000000540C: D3B70080 060299EC
	v_exp_f32_e32 v35, v35                                     // 000000005414: 7E464123
	v_exp_f32_e32 v36, v36                                     // 000000005418: 7E484124
	v_exp_f32_e32 v37, v37                                     // 00000000541C: 7E4A4125
	v_mfma_f32_32x32x16_bf16 v[144:159], v[240:243], v[64:67], v[144:159]// 000000005420: D3B70090 064281F0
	v_exp_f32_e32 v38, v38                                     // 000000005428: 7E4C4126
	v_exp_f32_e32 v39, v39                                     // 00000000542C: 7E4E4127
	v_exp_f32_e32 v40, v40                                     // 000000005430: 7E504128
	v_mfma_f32_32x32x16_bf16 v[144:159], v[244:247], v[68:71], v[144:159]// 000000005434: D3B70090 064289F4
	v_exp_f32_e32 v41, v41                                     // 00000000543C: 7E524129
	v_exp_f32_e32 v42, v42                                     // 000000005440: 7E54412A
	v_exp_f32_e32 v43, v43                                     // 000000005444: 7E56412B
	v_mfma_f32_32x32x16_bf16 v[144:159], v[248:251], v[72:75], v[144:159]// 000000005448: D3B70090 064291F8
	v_exp_f32_e32 v44, v44                                     // 000000005450: 7E58412C
	v_exp_f32_e32 v45, v45                                     // 000000005454: 7E5A412D
	v_exp_f32_e32 v46, v46                                     // 000000005458: 7E5C412E
	v_mfma_f32_32x32x16_bf16 v[144:159], v[252:255], v[76:79], v[144:159]// 00000000545C: D3B70090 064299FC
	v_exp_f32_e32 v47, v47                                     // 000000005464: 7E5E412F
	v_exp_f32_e32 v48, v48                                     // 000000005468: 7E604130
	v_exp_f32_e32 v49, v49                                     // 00000000546C: 7E624131
	s_nop 0                                                    // 000000005470: BF800000
	v_mov_b32_e32 v17, v16                                     // 000000005474: 7E220310
	v_mul_f32_e32 v110, v16, v110                              // 000000005478: 0ADCDD10
	v_mul_f32_e32 v111, v16, v111                              // 00000000547C: 0ADEDF10
	v_pk_mul_f32 v[112:113], v[16:17], v[112:113]              // 000000005480: D3B14070 1802E110
	v_pk_mul_f32 v[114:115], v[16:17], v[114:115]              // 000000005488: D3B14072 1802E510
	v_pk_mul_f32 v[116:117], v[16:17], v[116:117]              // 000000005490: D3B14074 1802E910
	v_pk_mul_f32 v[118:119], v[16:17], v[118:119]              // 000000005498: D3B14076 1802ED10
	v_pk_mul_f32 v[120:121], v[16:17], v[120:121]              // 0000000054A0: D3B14078 1802F110
	v_pk_mul_f32 v[122:123], v[16:17], v[122:123]              // 0000000054A8: D3B1407A 1802F510
	v_pk_mul_f32 v[124:125], v[16:17], v[124:125]              // 0000000054B0: D3B1407C 1802F910
	v_pk_mul_f32 v[126:127], v[16:17], v[126:127]              // 0000000054B8: D3B1407E 1802FD10
	v_pk_mul_f32 v[128:129], v[16:17], v[128:129]              // 0000000054C0: D3B14080 18030110
	v_pk_mul_f32 v[130:131], v[16:17], v[130:131]              // 0000000054C8: D3B14082 18030510
	v_pk_mul_f32 v[132:133], v[16:17], v[132:133]              // 0000000054D0: D3B14084 18030910
	v_pk_mul_f32 v[134:135], v[16:17], v[134:135]              // 0000000054D8: D3B14086 18030D10
	v_pk_mul_f32 v[136:137], v[16:17], v[136:137]              // 0000000054E0: D3B14088 18031110
	v_pk_mul_f32 v[138:139], v[16:17], v[138:139]              // 0000000054E8: D3B1408A 18031510
	v_pk_mul_f32 v[140:141], v[16:17], v[140:141]              // 0000000054F0: D3B1408C 18031910
	v_pk_mul_f32 v[142:143], v[16:17], v[142:143]              // 0000000054F8: D3B1408E 18031D10
	v_pk_mul_f32 v[144:145], v[16:17], v[144:145]              // 000000005500: D3B14090 18032110
	v_pk_mul_f32 v[146:147], v[16:17], v[146:147]              // 000000005508: D3B14092 18032510
	v_pk_mul_f32 v[148:149], v[16:17], v[148:149]              // 000000005510: D3B14094 18032910
	v_pk_mul_f32 v[150:151], v[16:17], v[150:151]              // 000000005518: D3B14096 18032D10
	v_pk_mul_f32 v[152:153], v[16:17], v[152:153]              // 000000005520: D3B14098 18033110
	v_pk_mul_f32 v[154:155], v[16:17], v[154:155]              // 000000005528: D3B1409A 18033510
	v_pk_mul_f32 v[156:157], v[16:17], v[156:157]              // 000000005530: D3B1409C 18033910
	v_pk_mul_f32 v[158:159], v[16:17], v[158:159]              // 000000005538: D3B1409E 18033D10
	s_nop 0                                                    // 000000005540: BF800000
	s_waitcnt vmcnt(4)                                         // 000000005544: BF8C0F74
	s_barrier                                                  // 000000005548: BF8A0000
	s_nop 15                                                   // 00000000554C: BF80000F
	s_nop 7                                                    // 000000005550: BF800007
	s_mov_b32 m0, s67                                          // 000000005554: BEFC0043
	buffer_load_dwordx4 v6, s[16:19], s35 offen lds            // 000000005558: E05D1000 23040006
	s_add_u32 m0, 0x2200, m0                                   // 000000005560: 807C7CFF 00002200
	buffer_load_dwordx4 v7, s[16:19], s35 offen lds            // 000000005568: E05D1000 23040007
	s_add_u32 m0, 0x2200, m0                                   // 000000005570: 807C7CFF 00002200
	s_add_i32 s35, s44, s35                                    // 000000005578: 8123232C
	s_nop 0                                                    // 00000000557C: BF800000
	s_add_u32 s40, 0xc0, s39                                   // 000000005580: 802827FF 000000C0
	s_nop 0                                                    // 000000005588: BF800000
	s_cmp_lt_u32 s40, s38                                      // 00000000558C: BF0A2628
	s_cselect_b32 s44, s44, 0                                  // 000000005590: 852C802C
	s_nop 15                                                   // 000000005594: BF80000F
	s_nop 15                                                   // 000000005598: BF80000F
	s_nop 7                                                    // 00000000559C: BF800007
	ds_read_b128 v[192:195], v9                                // 0000000055A0: D9FE0000 C0000009
	ds_read_b128 v[208:211], v9 offset:512                     // 0000000055A8: D9FE0200 D0000009
	ds_read_b128 v[196:199], v9 offset:32                      // 0000000055B0: D9FE0020 C4000009
	ds_read_b128 v[212:215], v9 offset:544                     // 0000000055B8: D9FE0220 D4000009
	ds_read_b128 v[200:203], v9 offset:64                      // 0000000055C0: D9FE0040 C8000009
	ds_read_b128 v[216:219], v9 offset:576                     // 0000000055C8: D9FE0240 D8000009
	ds_read_b128 v[204:207], v9 offset:96                      // 0000000055D0: D9FE0060 CC000009
	ds_read_b128 v[220:223], v9 offset:608                     // 0000000055D8: D9FE0260 DC000009
	ds_read_b128 v[224:227], v9 offset:8320                    // 0000000055E0: D9FE2080 E0000009
	ds_read_b128 v[240:243], v9 offset:8832                    // 0000000055E8: D9FE2280 F0000009
	ds_read_b128 v[228:231], v9 offset:8352                    // 0000000055F0: D9FE20A0 E4000009
	ds_read_b128 v[244:247], v9 offset:8864                    // 0000000055F8: D9FE22A0 F4000009
	ds_read_b128 v[232:235], v9 offset:8384                    // 000000005600: D9FE20C0 E8000009
	ds_read_b128 v[248:251], v9 offset:8896                    // 000000005608: D9FE22C0 F8000009
	ds_read_b128 v[236:239], v9 offset:8416                    // 000000005610: D9FE20E0 EC000009
	ds_read_b128 v[252:255], v9 offset:8928                    // 000000005618: D9FE22E0 FC000009
	s_add_i32 s52, s52, s53                                    // 000000005620: 81343534
	s_addk_i32 s39, 0x40                                       // 000000005624: B7270040
	s_cmp_lt_i32 s39, s38                                      // 000000005628: BF042627
	s_cbranch_scc0 label_0D94                                  // 00000000562C: BF8404C8
	s_branch label_03F6                                        // 000000005630: BF82FB29

0000000000005634 <label_08CD>:
	s_setprio 1                                                // 000000005634: BF8F0001
	s_barrier                                                  // 000000005638: BF8A0000

000000000000563c <label_08CF>:
	s_mov_b32 m0, s67                                          // 00000000563C: BEFC0043
	buffer_load_dwordx4 v6, s[16:19], s35 offen lds            // 000000005640: E05D1000 23040006
	s_add_u32 m0, 0x2200, m0                                   // 000000005648: 807C7CFF 00002200
	buffer_load_dwordx4 v7, s[16:19], s35 offen lds            // 000000005650: E05D1000 23040007
	s_add_u32 m0, 0x2200, m0                                   // 000000005658: 807C7CFF 00002200
	s_add_i32 s35, s44, s35                                    // 000000005660: 8123232C
	s_nop 0                                                    // 000000005664: BF800000
	s_add_u32 s40, 0x80, s39                                   // 000000005668: 802827FF 00000080
	s_nop 0                                                    // 000000005670: BF800000
	s_cmp_lt_u32 s40, s38                                      // 000000005674: BF0A2628
	s_cselect_b32 s44, s44, 0                                  // 000000005678: 852C802C
	ds_read_b128 v[192:195], v9                                // 00000000567C: D9FE0000 C0000009
	ds_read_b128 v[208:211], v9 offset:512                     // 000000005684: D9FE0200 D0000009
	ds_read_b128 v[196:199], v9 offset:32                      // 00000000568C: D9FE0020 C4000009
	ds_read_b128 v[212:215], v9 offset:544                     // 000000005694: D9FE0220 D4000009
	ds_read_b128 v[200:203], v9 offset:64                      // 00000000569C: D9FE0040 C8000009
	ds_read_b128 v[216:219], v9 offset:576                     // 0000000056A4: D9FE0240 D8000009
	ds_read_b128 v[204:207], v9 offset:96                      // 0000000056AC: D9FE0060 CC000009
	ds_read_b128 v[220:223], v9 offset:608                     // 0000000056B4: D9FE0260 DC000009
	ds_read_b128 v[224:227], v9 offset:8320                    // 0000000056BC: D9FE2080 E0000009
	ds_read_b128 v[240:243], v9 offset:8832                    // 0000000056C4: D9FE2280 F0000009
	ds_read_b128 v[228:231], v9 offset:8352                    // 0000000056CC: D9FE20A0 E4000009
	ds_read_b128 v[244:247], v9 offset:8864                    // 0000000056D4: D9FE22A0 F4000009
	ds_read_b128 v[232:235], v9 offset:8384                    // 0000000056DC: D9FE20C0 E8000009
	ds_read_b128 v[248:251], v9 offset:8896                    // 0000000056E4: D9FE22C0 F8000009
	ds_read_b128 v[236:239], v9 offset:8416                    // 0000000056EC: D9FE20E0 EC000009
	ds_read_b128 v[252:255], v9 offset:8928                    // 0000000056F4: D9FE22E0 FC000009
	s_waitcnt vmcnt(4) lgkmcnt(0)                              // 0000000056FC: BF8C0074
	s_barrier                                                  // 000000005700: BF8A0000
	v_mfma_f32_32x32x16_bf16 v[64:79], v[192:195], v[160:163], 0// 000000005704: D3B70040 020341C0
	v_exp_f32_e32 v50, v50                                     // 00000000570C: 7E644132
	v_exp_f32_e32 v51, v51                                     // 000000005710: 7E664133
	v_exp_f32_e32 v52, v52                                     // 000000005714: 7E684134
	v_mfma_f32_32x32x16_bf16 v[64:79], v[196:199], v[164:167], v[64:79]// 000000005718: D3B70040 050349C4
	v_exp_f32_e32 v53, v53                                     // 000000005720: 7E6A4135
	v_exp_f32_e32 v54, v54                                     // 000000005724: 7E6C4136
	v_exp_f32_e32 v55, v55                                     // 000000005728: 7E6E4137
	v_mfma_f32_32x32x16_bf16 v[64:79], v[200:203], v[168:171], v[64:79]// 00000000572C: D3B70040 050351C8
	v_exp_f32_e32 v56, v56                                     // 000000005734: 7E704138
	v_exp_f32_e32 v57, v57                                     // 000000005738: 7E724139
	v_exp_f32_e32 v58, v58                                     // 00000000573C: 7E74413A
	v_mfma_f32_32x32x16_bf16 v[64:79], v[204:207], v[172:175], v[64:79]// 000000005740: D3B70040 050359CC
	v_exp_f32_e32 v59, v59                                     // 000000005748: 7E76413B
	v_exp_f32_e32 v60, v60                                     // 00000000574C: 7E78413C
	v_exp_f32_e32 v61, v61                                     // 000000005750: 7E7A413D
	v_mfma_f32_32x32x16_bf16 v[64:79], v[224:227], v[176:179], v[64:79]// 000000005754: D3B70040 050361E0
	v_exp_f32_e32 v62, v62                                     // 00000000575C: 7E7C413E
	v_exp_f32_e32 v63, v63                                     // 000000005760: 7E7E413F
	v_mul_f32_e32 v18, v16, v18                                // 000000005764: 0A242510
	v_add_f32_e32 v19, v33, v32                                // 000000005768: 02264121
	v_mfma_f32_32x32x16_bf16 v[64:79], v[228:231], v[180:183], v[64:79]// 00000000576C: D3B70040 050369E4
	v_add_f32_e32 v19, v34, v19                                // 000000005774: 02262722
	v_add_f32_e32 v19, v35, v19                                // 000000005778: 02262723
	v_add_f32_e32 v19, v36, v19                                // 00000000577C: 02262724
	v_add_f32_e32 v19, v37, v19                                // 000000005780: 02262725
	v_add_f32_e32 v19, v38, v19                                // 000000005784: 02262726
	;; [unrolled: 1-line block ×3, first 2 shown]
	v_mfma_f32_32x32x16_bf16 v[64:79], v[232:235], v[184:187], v[64:79]// 00000000578C: D3B70040 050371E8
	v_add_f32_e32 v19, v40, v19                                // 000000005794: 02262728
	v_add_f32_e32 v19, v41, v19                                // 000000005798: 02262729
	v_add_f32_e32 v19, v42, v19                                // 00000000579C: 0226272A
	v_add_f32_e32 v19, v43, v19                                // 0000000057A0: 0226272B
	v_add_f32_e32 v19, v44, v19                                // 0000000057A4: 0226272C
	v_add_f32_e32 v19, v45, v19                                // 0000000057A8: 0226272D
	v_mfma_f32_32x32x16_bf16 v[64:79], v[236:239], v[188:191], v[64:79]// 0000000057AC: D3B70040 050379EC
	v_add_f32_e32 v19, v46, v19                                // 0000000057B4: 0226272E
	v_add_f32_e32 v19, v47, v19                                // 0000000057B8: 0226272F
	v_add_f32_e32 v19, v48, v19                                // 0000000057BC: 02262730
	v_add_f32_e32 v19, v49, v19                                // 0000000057C0: 02262731
	v_add_f32_e32 v19, v50, v19                                // 0000000057C4: 02262732
	v_add_f32_e32 v19, v51, v19                                // 0000000057C8: 02262733
	v_mfma_f32_32x32x16_bf16 v[80:95], v[208:211], v[160:163], 0// 0000000057CC: D3B70050 020341D0
	v_add_f32_e32 v19, v52, v19                                // 0000000057D4: 02262734
	v_add_f32_e32 v19, v53, v19                                // 0000000057D8: 02262735
	v_add_f32_e32 v19, v54, v19                                // 0000000057DC: 02262736
	v_add_f32_e32 v19, v55, v19                                // 0000000057E0: 02262737
	v_add_f32_e32 v19, v56, v19                                // 0000000057E4: 02262738
	v_add_f32_e32 v19, v57, v19                                // 0000000057E8: 02262739
	v_mfma_f32_32x32x16_bf16 v[80:95], v[212:215], v[164:167], v[80:95]// 0000000057EC: D3B70050 054349D4
	v_add_f32_e32 v19, v58, v19                                // 0000000057F4: 0226273A
	v_add_f32_e32 v19, v59, v19                                // 0000000057F8: 0226273B
	v_add_f32_e32 v19, v60, v19                                // 0000000057FC: 0226273C
	v_add_f32_e32 v19, v61, v19                                // 000000005800: 0226273D
	v_add_f32_e32 v19, v62, v19                                // 000000005804: 0226273E
	v_add_f32_e32 v19, v63, v19                                // 000000005808: 0226273F
	v_mfma_f32_32x32x16_bf16 v[80:95], v[216:219], v[168:171], v[80:95]// 00000000580C: D3B70050 054351D8
	v_mov_b32_e32 v20, v19                                     // 000000005814: 7E280313
	v_mul_f32_e32 v96, v16, v96                                // 000000005818: 0AC0C110
	v_mul_f32_e32 v97, v16, v97                                // 00000000581C: 0AC2C310
	v_permlane32_swap_b32_e32 v20, v19                         // 000000005820: 7E28B513
	v_add_f32_e32 v20, v20, v19                                // 000000005824: 02282714
	v_mfma_f32_32x32x16_bf16 v[80:95], v[220:223], v[172:175], v[80:95]// 000000005828: D3B70050 054359DC
	v_add_f32_e32 v18, v20, v18                                // 000000005830: 02242514
	v_mul_f32_e32 v98, v16, v98                                // 000000005834: 0AC4C510
	v_mul_f32_e32 v99, v16, v99                                // 000000005838: 0AC6C710
	v_mul_f32_e32 v100, v16, v100                              // 00000000583C: 0AC8C910
	v_mul_f32_e32 v101, v16, v101                              // 000000005840: 0ACACB10
	v_mul_f32_e32 v102, v16, v102                              // 000000005844: 0ACCCD10
	v_mfma_f32_32x32x16_bf16 v[80:95], v[240:243], v[176:179], v[80:95]// 000000005848: D3B70050 054361F0
	v_mul_f32_e32 v103, v16, v103                              // 000000005850: 0ACECF10
	v_mul_f32_e32 v104, v16, v104                              // 000000005854: 0AD0D110
	v_mul_f32_e32 v105, v16, v105                              // 000000005858: 0AD2D310
	v_mul_f32_e32 v106, v16, v106                              // 00000000585C: 0AD4D510
	v_mul_f32_e32 v107, v16, v107                              // 000000005860: 0AD6D710
	v_mul_f32_e32 v108, v16, v108                              // 000000005864: 0AD8D910
	v_mfma_f32_32x32x16_bf16 v[80:95], v[244:247], v[180:183], v[80:95]// 000000005868: D3B70050 054369F4
	v_mul_f32_e32 v109, v16, v109                              // 000000005870: 0ADADB10
	v_cvt_pk_bf16_f32 v32, v32, v33                            // 000000005874: D2680020 00024320
	v_cvt_pk_bf16_f32 v33, v34, v35                            // 00000000587C: D2680021 00024722
	v_cvt_pk_bf16_f32 v34, v36, v37                            // 000000005884: D2680022 00024B24
	v_cvt_pk_bf16_f32 v35, v38, v39                            // 00000000588C: D2680023 00024F26
	v_cvt_pk_bf16_f32 v36, v40, v41                            // 000000005894: D2680024 00025328
	v_mfma_f32_32x32x16_bf16 v[80:95], v[248:251], v[184:187], v[80:95]// 00000000589C: D3B70050 054371F8
	v_cvt_pk_bf16_f32 v37, v42, v43                            // 0000000058A4: D2680025 0002572A
	v_cvt_pk_bf16_f32 v38, v44, v45                            // 0000000058AC: D2680026 00025B2C
	v_cvt_pk_bf16_f32 v39, v46, v47                            // 0000000058B4: D2680027 00025F2E
	v_cvt_pk_bf16_f32 v40, v48, v49                            // 0000000058BC: D2680028 00026330
	v_cvt_pk_bf16_f32 v41, v50, v51                            // 0000000058C4: D2680029 00026732
	v_cvt_pk_bf16_f32 v42, v52, v53                            // 0000000058CC: D268002A 00026B34
	v_mfma_f32_32x32x16_bf16 v[80:95], v[252:255], v[188:191], v[80:95]// 0000000058D4: D3B70050 054379FC
	v_cvt_pk_bf16_f32 v43, v54, v55                            // 0000000058DC: D268002B 00026F36
	v_cvt_pk_bf16_f32 v44, v56, v57                            // 0000000058E4: D268002C 00027338
	v_cvt_pk_bf16_f32 v45, v58, v59                            // 0000000058EC: D268002D 0002773A
	v_cvt_pk_bf16_f32 v46, v60, v61                            // 0000000058F4: D268002E 00027B3C
	v_cvt_pk_bf16_f32 v47, v62, v63                            // 0000000058FC: D268002F 00027F3E
	s_barrier                                                  // 000000005904: BF8A0000
	s_cmp_lt_i32 s52, s54                                      // 000000005908: BF043634
	s_cbranch_scc1 label_0A07                                  // 00000000590C: BF850083
	s_sub_i32 s40, s7, s52                                     // 000000005910: 81A83407
	v_sub_i32 v12, s40, v26                                    // 000000005914: D29D000C 00023428
	v_cmp_lt_i32_e64 s[68:69], 0, v12                          // 00000000591C: D0C10044 00021880
	v_cmp_lt_i32_e64 s[70:71], 1, v12                          // 000000005924: D0C10046 00021881
	v_cndmask_b32_e64 v64, v27, v64, s[68:69]                  // 00000000592C: D1000040 0112811B
	v_cndmask_b32_e64 v65, v27, v65, s[70:71]                  // 000000005934: D1000041 011A831B
	v_cmp_lt_i32_e64 s[68:69], 2, v12                          // 00000000593C: D0C10044 00021882
	v_cmp_lt_i32_e64 s[70:71], 3, v12                          // 000000005944: D0C10046 00021883
	v_cndmask_b32_e64 v66, v27, v66, s[68:69]                  // 00000000594C: D1000042 0112851B
	v_cndmask_b32_e64 v67, v27, v67, s[70:71]                  // 000000005954: D1000043 011A871B
	v_cmp_lt_i32_e64 s[68:69], 8, v12                          // 00000000595C: D0C10044 00021888
	v_cmp_lt_i32_e64 s[70:71], 9, v12                          // 000000005964: D0C10046 00021889
	v_cndmask_b32_e64 v68, v27, v68, s[68:69]                  // 00000000596C: D1000044 0112891B
	v_cndmask_b32_e64 v69, v27, v69, s[70:71]                  // 000000005974: D1000045 011A8B1B
	v_cmp_lt_i32_e64 s[68:69], 10, v12                         // 00000000597C: D0C10044 0002188A
	v_cmp_lt_i32_e64 s[70:71], 11, v12                         // 000000005984: D0C10046 0002188B
	v_cndmask_b32_e64 v70, v27, v70, s[68:69]                  // 00000000598C: D1000046 01128D1B
	v_cndmask_b32_e64 v71, v27, v71, s[70:71]                  // 000000005994: D1000047 011A8F1B
	v_cmp_lt_i32_e64 s[68:69], 16, v12                         // 00000000599C: D0C10044 00021890
	v_cmp_lt_i32_e64 s[70:71], 17, v12                         // 0000000059A4: D0C10046 00021891
	v_cndmask_b32_e64 v72, v27, v72, s[68:69]                  // 0000000059AC: D1000048 0112911B
	v_cndmask_b32_e64 v73, v27, v73, s[70:71]                  // 0000000059B4: D1000049 011A931B
	v_cmp_lt_i32_e64 s[68:69], 18, v12                         // 0000000059BC: D0C10044 00021892
	v_cmp_lt_i32_e64 s[70:71], 19, v12                         // 0000000059C4: D0C10046 00021893
	v_cndmask_b32_e64 v74, v27, v74, s[68:69]                  // 0000000059CC: D100004A 0112951B
	v_cndmask_b32_e64 v75, v27, v75, s[70:71]                  // 0000000059D4: D100004B 011A971B
	v_cmp_lt_i32_e64 s[68:69], 24, v12                         // 0000000059DC: D0C10044 00021898
	v_cmp_lt_i32_e64 s[70:71], 25, v12                         // 0000000059E4: D0C10046 00021899
	v_cndmask_b32_e64 v76, v27, v76, s[68:69]                  // 0000000059EC: D100004C 0112991B
	v_cndmask_b32_e64 v77, v27, v77, s[70:71]                  // 0000000059F4: D100004D 011A9B1B
	v_cmp_lt_i32_e64 s[68:69], 26, v12                         // 0000000059FC: D0C10044 0002189A
	v_cmp_lt_i32_e64 s[70:71], 27, v12                         // 000000005A04: D0C10046 0002189B
	v_cndmask_b32_e64 v78, v27, v78, s[68:69]                  // 000000005A0C: D100004E 01129D1B
	v_cndmask_b32_e64 v79, v27, v79, s[70:71]                  // 000000005A14: D100004F 011A9F1B
	v_cmp_lt_i32_e64 s[68:69], 32, v12                         // 000000005A1C: D0C10044 000218A0
	v_cmp_lt_i32_e64 s[70:71], 33, v12                         // 000000005A24: D0C10046 000218A1
	v_cndmask_b32_e64 v80, v27, v80, s[68:69]                  // 000000005A2C: D1000050 0112A11B
	v_cndmask_b32_e64 v81, v27, v81, s[70:71]                  // 000000005A34: D1000051 011AA31B
	v_cmp_lt_i32_e64 s[68:69], 34, v12                         // 000000005A3C: D0C10044 000218A2
	v_cmp_lt_i32_e64 s[70:71], 35, v12                         // 000000005A44: D0C10046 000218A3
	v_cndmask_b32_e64 v82, v27, v82, s[68:69]                  // 000000005A4C: D1000052 0112A51B
	v_cndmask_b32_e64 v83, v27, v83, s[70:71]                  // 000000005A54: D1000053 011AA71B
	v_cmp_lt_i32_e64 s[68:69], 40, v12                         // 000000005A5C: D0C10044 000218A8
	v_cmp_lt_i32_e64 s[70:71], 41, v12                         // 000000005A64: D0C10046 000218A9
	v_cndmask_b32_e64 v84, v27, v84, s[68:69]                  // 000000005A6C: D1000054 0112A91B
	v_cndmask_b32_e64 v85, v27, v85, s[70:71]                  // 000000005A74: D1000055 011AAB1B
	v_cmp_lt_i32_e64 s[68:69], 42, v12                         // 000000005A7C: D0C10044 000218AA
	v_cmp_lt_i32_e64 s[70:71], 43, v12                         // 000000005A84: D0C10046 000218AB
	v_cndmask_b32_e64 v86, v27, v86, s[68:69]                  // 000000005A8C: D1000056 0112AD1B
	v_cndmask_b32_e64 v87, v27, v87, s[70:71]                  // 000000005A94: D1000057 011AAF1B
	v_cmp_lt_i32_e64 s[68:69], 48, v12                         // 000000005A9C: D0C10044 000218B0
	v_cmp_lt_i32_e64 s[70:71], 49, v12                         // 000000005AA4: D0C10046 000218B1
	v_cndmask_b32_e64 v88, v27, v88, s[68:69]                  // 000000005AAC: D1000058 0112B11B
	v_cndmask_b32_e64 v89, v27, v89, s[70:71]                  // 000000005AB4: D1000059 011AB31B
	v_cmp_lt_i32_e64 s[68:69], 50, v12                         // 000000005ABC: D0C10044 000218B2
	v_cmp_lt_i32_e64 s[70:71], 51, v12                         // 000000005AC4: D0C10046 000218B3
	v_cndmask_b32_e64 v90, v27, v90, s[68:69]                  // 000000005ACC: D100005A 0112B51B
	v_cndmask_b32_e64 v91, v27, v91, s[70:71]                  // 000000005AD4: D100005B 011AB71B
	v_cmp_lt_i32_e64 s[68:69], 56, v12                         // 000000005ADC: D0C10044 000218B8
	v_cmp_lt_i32_e64 s[70:71], 57, v12                         // 000000005AE4: D0C10046 000218B9
	v_cndmask_b32_e64 v92, v27, v92, s[68:69]                  // 000000005AEC: D100005C 0112B91B
	v_cndmask_b32_e64 v93, v27, v93, s[70:71]                  // 000000005AF4: D100005D 011ABB1B
	v_cmp_lt_i32_e64 s[68:69], 58, v12                         // 000000005AFC: D0C10044 000218BA
	v_cmp_lt_i32_e64 s[70:71], 59, v12                         // 000000005B04: D0C10046 000218BB
	v_cndmask_b32_e64 v94, v27, v94, s[68:69]                  // 000000005B0C: D100005E 0112BD1B
	v_cndmask_b32_e64 v95, v27, v95, s[70:71]                  // 000000005B14: D100005F 011ABF1B

0000000000005b1c <label_0A07>:
	s_mov_b32 m0, s65                                          // 000000005B1C: BEFC0041
	buffer_load_dwordx4 v4, s[12:15], s34 offen lds            // 000000005B20: E05D1000 22030004
	s_add_u32 m0, 0x2080, m0                                   // 000000005B28: 807C7CFF 00002080
	buffer_load_dwordx4 v5, s[12:15], s34 offen lds            // 000000005B30: E05D1000 22030005
	s_add_u32 m0, 0x2080, m0                                   // 000000005B38: 807C7CFF 00002080
	s_add_i32 s34, s43, s34                                    // 000000005B40: 8122222B
	s_nop 0                                                    // 000000005B44: BF800000
	s_add_u32 s40, 0x100, s39                                  // 000000005B48: 802827FF 00000100
	s_nop 0                                                    // 000000005B50: BF800000
	s_cmp_lt_u32 s40, s38                                      // 000000005B54: BF0A2628
	s_cselect_b32 s43, s43, 0                                  // 000000005B58: 852B802B
	s_nop 15                                                   // 000000005B5C: BF80000F
	s_nop 8                                                    // 000000005B60: BF800008
	s_nop 7                                                    // 000000005B64: BF800007
	ds_read_b64_tr_b16 v[192:193], v10                         // 000000005B68: D9C60000 C000000A
	ds_read_b64_tr_b16 v[194:195], v10 offset:512              // 000000005B70: D9C60200 C200000A
	ds_read_b64_tr_b16 v[208:209], v10 offset:64               // 000000005B78: D9C60040 D000000A
	ds_read_b64_tr_b16 v[210:211], v10 offset:576              // 000000005B80: D9C60240 D200000A
	ds_read_b64_tr_b16 v[196:197], v10 offset:2176             // 000000005B88: D9C60880 C400000A
	ds_read_b64_tr_b16 v[198:199], v10 offset:2688             // 000000005B90: D9C60A80 C600000A
	ds_read_b64_tr_b16 v[212:213], v10 offset:2240             // 000000005B98: D9C608C0 D400000A
	ds_read_b64_tr_b16 v[214:215], v10 offset:2752             // 000000005BA0: D9C60AC0 D600000A
	ds_read_b64_tr_b16 v[200:201], v10 offset:4352             // 000000005BA8: D9C61100 C800000A
	ds_read_b64_tr_b16 v[202:203], v10 offset:4864             // 000000005BB0: D9C61300 CA00000A
	ds_read_b64_tr_b16 v[216:217], v10 offset:4416             // 000000005BB8: D9C61140 D800000A
	ds_read_b64_tr_b16 v[218:219], v10 offset:4928             // 000000005BC0: D9C61340 DA00000A
	ds_read_b64_tr_b16 v[204:205], v10 offset:6528             // 000000005BC8: D9C61980 CC00000A
	ds_read_b64_tr_b16 v[206:207], v10 offset:7040             // 000000005BD0: D9C61B80 CE00000A
	ds_read_b64_tr_b16 v[220:221], v10 offset:6592             // 000000005BD8: D9C619C0 DC00000A
	ds_read_b64_tr_b16 v[222:223], v10 offset:7104             // 000000005BE0: D9C61BC0 DE00000A
	ds_read_b64_tr_b16 v[224:225], v10 offset:8704             // 000000005BE8: D9C62200 E000000A
	ds_read_b64_tr_b16 v[226:227], v10 offset:9216             // 000000005BF0: D9C62400 E200000A
	ds_read_b64_tr_b16 v[240:241], v10 offset:8768             // 000000005BF8: D9C62240 F000000A
	ds_read_b64_tr_b16 v[242:243], v10 offset:9280             // 000000005C00: D9C62440 F200000A
	ds_read_b64_tr_b16 v[228:229], v10 offset:10880            // 000000005C08: D9C62A80 E400000A
	ds_read_b64_tr_b16 v[230:231], v10 offset:11392            // 000000005C10: D9C62C80 E600000A
	ds_read_b64_tr_b16 v[244:245], v10 offset:10944            // 000000005C18: D9C62AC0 F400000A
	ds_read_b64_tr_b16 v[246:247], v10 offset:11456            // 000000005C20: D9C62CC0 F600000A
	ds_read_b64_tr_b16 v[232:233], v10 offset:13056            // 000000005C28: D9C63300 E800000A
	ds_read_b64_tr_b16 v[234:235], v10 offset:13568            // 000000005C30: D9C63500 EA00000A
	ds_read_b64_tr_b16 v[248:249], v10 offset:13120            // 000000005C38: D9C63340 F800000A
	ds_read_b64_tr_b16 v[250:251], v10 offset:13632            // 000000005C40: D9C63540 FA00000A
	ds_read_b64_tr_b16 v[236:237], v10 offset:15232            // 000000005C48: D9C63B80 EC00000A
	ds_read_b64_tr_b16 v[238:239], v10 offset:15744            // 000000005C50: D9C63D80 EE00000A
	ds_read_b64_tr_b16 v[252:253], v10 offset:15296            // 000000005C58: D9C63BC0 FC00000A
	ds_read_b64_tr_b16 v[254:255], v10 offset:15808            // 000000005C60: D9C63DC0 FE00000A
	s_add_i32 s52, s52, s53                                    // 000000005C68: 81343534
	s_addk_i32 s39, 0x40                                       // 000000005C6C: B7270040
	s_cmp_lt_i32 s39, s38                                      // 000000005C70: BF042627
	s_waitcnt vmcnt(4) lgkmcnt(0)                              // 000000005C74: BF8C0074
	s_barrier                                                  // 000000005C78: BF8A0000
	v_mfma_f32_32x32x16_bf16 v[96:111], v[192:195], v[32:35], v[96:111]// 000000005C7C: D3B70060 058241C0
	v_mov_b32_e32 v21, v24                                     // 000000005C84: 7E2A0318
	v_max3_f32 v21, v64, v65, v21                              // 000000005C88: D1D30015 04568340
	v_max3_f32 v21, v66, v67, v21                              // 000000005C90: D1D30015 04568742
	v_max3_f32 v21, v68, v69, v21                              // 000000005C98: D1D30015 04568B44
	v_max3_f32 v21, v70, v71, v21                              // 000000005CA0: D1D30015 04568F46
	v_max3_f32 v21, v72, v73, v21                              // 000000005CA8: D1D30015 04569348
	v_mfma_f32_32x32x16_bf16 v[96:111], v[196:199], v[36:39], v[96:111]// 000000005CB0: D3B70060 058249C4
	v_max3_f32 v21, v74, v75, v21                              // 000000005CB8: D1D30015 0456974A
	v_max3_f32 v21, v76, v77, v21                              // 000000005CC0: D1D30015 04569B4C
	v_max3_f32 v21, v78, v79, v21                              // 000000005CC8: D1D30015 04569F4E
	v_max3_f32 v21, v80, v81, v21                              // 000000005CD0: D1D30015 0456A350
	v_max3_f32 v21, v82, v83, v21                              // 000000005CD8: D1D30015 0456A752
	v_max3_f32 v21, v84, v85, v21                              // 000000005CE0: D1D30015 0456AB54
	v_mfma_f32_32x32x16_bf16 v[96:111], v[200:203], v[40:43], v[96:111]// 000000005CE8: D3B70060 058251C8
	v_max3_f32 v21, v86, v87, v21                              // 000000005CF0: D1D30015 0456AF56
	v_max3_f32 v21, v88, v89, v21                              // 000000005CF8: D1D30015 0456B358
	v_max3_f32 v21, v90, v91, v21                              // 000000005D00: D1D30015 0456B75A
	v_max3_f32 v21, v92, v93, v21                              // 000000005D08: D1D30015 0456BB5C
	v_max3_f32 v21, v94, v95, v21                              // 000000005D10: D1D30015 0456BF5E
	v_mov_b32_e32 v20, v21                                     // 000000005D18: 7E280315
	v_mfma_f32_32x32x16_bf16 v[96:111], v[204:207], v[44:47], v[96:111]// 000000005D1C: D3B70060 058259CC
	v_nop                                                      // 000000005D24: 7E000000
	v_nop                                                      // 000000005D28: 7E000000
	v_permlane32_swap_b32_e32 v20, v21                         // 000000005D2C: 7E28B515
	v_max_f32_e32 v21, v20, v21                                // 000000005D30: 162A2B14
	v_sub_f32_e32 v16, v24, v21                                // 000000005D34: 04202B18
	v_mfma_f32_32x32x16_bf16 v[112:127], v[208:211], v[32:35], v[112:127]// 000000005D38: D3B70070 05C241D0
	v_mov_b32_e32 v24, v21                                     // 000000005D40: 7E300315
	v_mul_f32_e32 v23, s37, v21                                // 000000005D44: 0A2E2A25
	v_mul_f32_e32 v16, s37, v16                                // 000000005D48: 0A202025
	v_exp_f32_e32 v16, v16                                     // 000000005D4C: 7E204110
	v_fma_f32 v64, v64, s37, -v23                              // 000000005D50: D1CB0040 845C4B40
	v_mfma_f32_32x32x16_bf16 v[112:127], v[212:215], v[36:39], v[112:127]// 000000005D58: D3B70070 05C249D4
	v_fma_f32 v65, v65, s37, -v23                              // 000000005D60: D1CB0041 845C4B41
	v_fma_f32 v66, v66, s37, -v23                              // 000000005D68: D1CB0042 845C4B42
	v_fma_f32 v67, v67, s37, -v23                              // 000000005D70: D1CB0043 845C4B43
	v_fma_f32 v68, v68, s37, -v23                              // 000000005D78: D1CB0044 845C4B44
	v_fma_f32 v69, v69, s37, -v23                              // 000000005D80: D1CB0045 845C4B45
	v_fma_f32 v70, v70, s37, -v23                              // 000000005D88: D1CB0046 845C4B46
	v_mfma_f32_32x32x16_bf16 v[112:127], v[216:219], v[40:43], v[112:127]// 000000005D90: D3B70070 05C251D8
	v_fma_f32 v71, v71, s37, -v23                              // 000000005D98: D1CB0047 845C4B47
	v_fma_f32 v72, v72, s37, -v23                              // 000000005DA0: D1CB0048 845C4B48
	v_fma_f32 v73, v73, s37, -v23                              // 000000005DA8: D1CB0049 845C4B49
	v_fma_f32 v74, v74, s37, -v23                              // 000000005DB0: D1CB004A 845C4B4A
	v_fma_f32 v75, v75, s37, -v23                              // 000000005DB8: D1CB004B 845C4B4B
	v_fma_f32 v76, v76, s37, -v23                              // 000000005DC0: D1CB004C 845C4B4C
	v_mfma_f32_32x32x16_bf16 v[112:127], v[220:223], v[44:47], v[112:127]// 000000005DC8: D3B70070 05C259DC
	v_fma_f32 v77, v77, s37, -v23                              // 000000005DD0: D1CB004D 845C4B4D
	v_fma_f32 v78, v78, s37, -v23                              // 000000005DD8: D1CB004E 845C4B4E
	v_fma_f32 v79, v79, s37, -v23                              // 000000005DE0: D1CB004F 845C4B4F
	v_fma_f32 v80, v80, s37, -v23                              // 000000005DE8: D1CB0050 845C4B50
	v_fma_f32 v81, v81, s37, -v23                              // 000000005DF0: D1CB0051 845C4B51
	v_fma_f32 v82, v82, s37, -v23                              // 000000005DF8: D1CB0052 845C4B52
	v_mfma_f32_32x32x16_bf16 v[128:143], v[224:227], v[32:35], v[128:143]// 000000005E00: D3B70080 060241E0
	v_fma_f32 v83, v83, s37, -v23                              // 000000005E08: D1CB0053 845C4B53
	v_fma_f32 v84, v84, s37, -v23                              // 000000005E10: D1CB0054 845C4B54
	v_fma_f32 v85, v85, s37, -v23                              // 000000005E18: D1CB0055 845C4B55
	v_fma_f32 v86, v86, s37, -v23                              // 000000005E20: D1CB0056 845C4B56
	v_fma_f32 v87, v87, s37, -v23                              // 000000005E28: D1CB0057 845C4B57
	v_fma_f32 v88, v88, s37, -v23                              // 000000005E30: D1CB0058 845C4B58
	v_mfma_f32_32x32x16_bf16 v[128:143], v[228:231], v[36:39], v[128:143]// 000000005E38: D3B70080 060249E4
	v_fma_f32 v89, v89, s37, -v23                              // 000000005E40: D1CB0059 845C4B59
	v_fma_f32 v90, v90, s37, -v23                              // 000000005E48: D1CB005A 845C4B5A
	v_fma_f32 v91, v91, s37, -v23                              // 000000005E50: D1CB005B 845C4B5B
	v_fma_f32 v92, v92, s37, -v23                              // 000000005E58: D1CB005C 845C4B5C
	v_fma_f32 v93, v93, s37, -v23                              // 000000005E60: D1CB005D 845C4B5D
	v_fma_f32 v94, v94, s37, -v23                              // 000000005E68: D1CB005E 845C4B5E
	v_mfma_f32_32x32x16_bf16 v[128:143], v[232:235], v[40:43], v[128:143]// 000000005E70: D3B70080 060251E8
	v_fma_f32 v95, v95, s37, -v23                              // 000000005E78: D1CB005F 845C4B5F
	v_exp_f32_e32 v64, v64                                     // 000000005E80: 7E804140
	v_exp_f32_e32 v65, v65                                     // 000000005E84: 7E824141
	v_exp_f32_e32 v66, v66                                     // 000000005E88: 7E844142
	v_mfma_f32_32x32x16_bf16 v[128:143], v[236:239], v[44:47], v[128:143]// 000000005E8C: D3B70080 060259EC
	v_exp_f32_e32 v67, v67                                     // 000000005E94: 7E864143
	v_exp_f32_e32 v68, v68                                     // 000000005E98: 7E884144
	v_exp_f32_e32 v69, v69                                     // 000000005E9C: 7E8A4145
	v_mfma_f32_32x32x16_bf16 v[144:159], v[240:243], v[32:35], v[144:159]// 000000005EA0: D3B70090 064241F0
	v_exp_f32_e32 v70, v70                                     // 000000005EA8: 7E8C4146
	v_exp_f32_e32 v71, v71                                     // 000000005EAC: 7E8E4147
	v_exp_f32_e32 v72, v72                                     // 000000005EB0: 7E904148
	v_mfma_f32_32x32x16_bf16 v[144:159], v[244:247], v[36:39], v[144:159]// 000000005EB4: D3B70090 064249F4
	v_exp_f32_e32 v73, v73                                     // 000000005EBC: 7E924149
	v_exp_f32_e32 v74, v74                                     // 000000005EC0: 7E94414A
	v_exp_f32_e32 v75, v75                                     // 000000005EC4: 7E96414B
	v_mfma_f32_32x32x16_bf16 v[144:159], v[248:251], v[40:43], v[144:159]// 000000005EC8: D3B70090 064251F8
	v_exp_f32_e32 v76, v76                                     // 000000005ED0: 7E98414C
	v_exp_f32_e32 v77, v77                                     // 000000005ED4: 7E9A414D
	v_exp_f32_e32 v78, v78                                     // 000000005ED8: 7E9C414E
	v_mfma_f32_32x32x16_bf16 v[144:159], v[252:255], v[44:47], v[144:159]// 000000005EDC: D3B70090 064259FC
	v_exp_f32_e32 v79, v79                                     // 000000005EE4: 7E9E414F
	v_exp_f32_e32 v80, v80                                     // 000000005EE8: 7EA04150
	v_exp_f32_e32 v81, v81                                     // 000000005EEC: 7EA24151
	v_nop                                                      // 000000005EF0: 7E000000
	v_mov_b32_e32 v17, v16                                     // 000000005EF4: 7E220310
	v_mul_f32_e32 v110, v16, v110                              // 000000005EF8: 0ADCDD10
	v_mul_f32_e32 v111, v16, v111                              // 000000005EFC: 0ADEDF10
	v_pk_mul_f32 v[112:113], v[16:17], v[112:113]              // 000000005F00: D3B14070 1802E110
	v_pk_mul_f32 v[114:115], v[16:17], v[114:115]              // 000000005F08: D3B14072 1802E510
	v_pk_mul_f32 v[116:117], v[16:17], v[116:117]              // 000000005F10: D3B14074 1802E910
	v_pk_mul_f32 v[118:119], v[16:17], v[118:119]              // 000000005F18: D3B14076 1802ED10
	v_pk_mul_f32 v[120:121], v[16:17], v[120:121]              // 000000005F20: D3B14078 1802F110
	v_pk_mul_f32 v[122:123], v[16:17], v[122:123]              // 000000005F28: D3B1407A 1802F510
	v_pk_mul_f32 v[124:125], v[16:17], v[124:125]              // 000000005F30: D3B1407C 1802F910
	v_pk_mul_f32 v[126:127], v[16:17], v[126:127]              // 000000005F38: D3B1407E 1802FD10
	v_pk_mul_f32 v[128:129], v[16:17], v[128:129]              // 000000005F40: D3B14080 18030110
	v_pk_mul_f32 v[130:131], v[16:17], v[130:131]              // 000000005F48: D3B14082 18030510
	v_pk_mul_f32 v[132:133], v[16:17], v[132:133]              // 000000005F50: D3B14084 18030910
	v_pk_mul_f32 v[134:135], v[16:17], v[134:135]              // 000000005F58: D3B14086 18030D10
	v_pk_mul_f32 v[136:137], v[16:17], v[136:137]              // 000000005F60: D3B14088 18031110
	v_pk_mul_f32 v[138:139], v[16:17], v[138:139]              // 000000005F68: D3B1408A 18031510
	v_pk_mul_f32 v[140:141], v[16:17], v[140:141]              // 000000005F70: D3B1408C 18031910
	v_pk_mul_f32 v[142:143], v[16:17], v[142:143]              // 000000005F78: D3B1408E 18031D10
	v_pk_mul_f32 v[144:145], v[16:17], v[144:145]              // 000000005F80: D3B14090 18032110
	v_pk_mul_f32 v[146:147], v[16:17], v[146:147]              // 000000005F88: D3B14092 18032510
	v_pk_mul_f32 v[148:149], v[16:17], v[148:149]              // 000000005F90: D3B14094 18032910
	v_pk_mul_f32 v[150:151], v[16:17], v[150:151]              // 000000005F98: D3B14096 18032D10
	v_pk_mul_f32 v[152:153], v[16:17], v[152:153]              // 000000005FA0: D3B14098 18033110
	v_pk_mul_f32 v[154:155], v[16:17], v[154:155]              // 000000005FA8: D3B1409A 18033510
	v_pk_mul_f32 v[156:157], v[16:17], v[156:157]              // 000000005FB0: D3B1409C 18033910
	v_pk_mul_f32 v[158:159], v[16:17], v[158:159]              // 000000005FB8: D3B1409E 18033D10
	s_cbranch_scc0 label_0D94                                  // 000000005FC0: BF840263
	s_mov_b32 m0, s66                                          // 000000005FC4: BEFC0042
	buffer_load_dwordx4 v6, s[16:19], s35 offen lds            // 000000005FC8: E05D1000 23040006
	s_add_u32 m0, 0x2200, m0                                   // 000000005FD0: 807C7CFF 00002200
	buffer_load_dwordx4 v7, s[16:19], s35 offen lds            // 000000005FD8: E05D1000 23040007
	s_add_u32 m0, 0x2200, m0                                   // 000000005FE0: 807C7CFF 00002200
	s_add_i32 s35, s44, s35                                    // 000000005FE8: 8123232C
	s_nop 0                                                    // 000000005FEC: BF800000
	s_add_u32 s40, 0x80, s39                                   // 000000005FF0: 802827FF 00000080
	s_nop 0                                                    // 000000005FF8: BF800000
	s_cmp_lt_u32 s40, s38                                      // 000000005FFC: BF0A2628
	s_cselect_b32 s44, s44, 0                                  // 000000006000: 852C802C
	ds_read_b128 v[192:195], v8                                // 000000006004: D9FE0000 C0000008
	ds_read_b128 v[208:211], v8 offset:512                     // 00000000600C: D9FE0200 D0000008
	ds_read_b128 v[196:199], v8 offset:32                      // 000000006014: D9FE0020 C4000008
	ds_read_b128 v[212:215], v8 offset:544                     // 00000000601C: D9FE0220 D4000008
	ds_read_b128 v[200:203], v8 offset:64                      // 000000006024: D9FE0040 C8000008
	ds_read_b128 v[216:219], v8 offset:576                     // 00000000602C: D9FE0240 D8000008
	ds_read_b128 v[204:207], v8 offset:96                      // 000000006034: D9FE0060 CC000008
	ds_read_b128 v[220:223], v8 offset:608                     // 00000000603C: D9FE0260 DC000008
	ds_read_b128 v[224:227], v8 offset:8320                    // 000000006044: D9FE2080 E0000008
	ds_read_b128 v[240:243], v8 offset:8832                    // 00000000604C: D9FE2280 F0000008
	ds_read_b128 v[228:231], v8 offset:8352                    // 000000006054: D9FE20A0 E4000008
	ds_read_b128 v[244:247], v8 offset:8864                    // 00000000605C: D9FE22A0 F4000008
	ds_read_b128 v[232:235], v8 offset:8384                    // 000000006064: D9FE20C0 E8000008
	ds_read_b128 v[248:251], v8 offset:8896                    // 00000000606C: D9FE22C0 F8000008
	ds_read_b128 v[236:239], v8 offset:8416                    // 000000006074: D9FE20E0 EC000008
	ds_read_b128 v[252:255], v8 offset:8928                    // 00000000607C: D9FE22E0 FC000008
	s_waitcnt vmcnt(4) lgkmcnt(0)                              // 000000006084: BF8C0074
	s_barrier                                                  // 000000006088: BF8A0000
	v_mfma_f32_32x32x16_bf16 v[32:47], v[192:195], v[160:163], 0// 00000000608C: D3B70020 020341C0
	v_exp_f32_e32 v82, v82                                     // 000000006094: 7EA44152
	v_exp_f32_e32 v83, v83                                     // 000000006098: 7EA64153
	v_exp_f32_e32 v84, v84                                     // 00000000609C: 7EA84154
	v_mfma_f32_32x32x16_bf16 v[32:47], v[196:199], v[164:167], v[32:47]// 0000000060A0: D3B70020 048349C4
	v_exp_f32_e32 v85, v85                                     // 0000000060A8: 7EAA4155
	v_exp_f32_e32 v86, v86                                     // 0000000060AC: 7EAC4156
	v_exp_f32_e32 v87, v87                                     // 0000000060B0: 7EAE4157
	v_mfma_f32_32x32x16_bf16 v[32:47], v[200:203], v[168:171], v[32:47]// 0000000060B4: D3B70020 048351C8
	v_exp_f32_e32 v88, v88                                     // 0000000060BC: 7EB04158
	v_exp_f32_e32 v89, v89                                     // 0000000060C0: 7EB24159
	v_exp_f32_e32 v90, v90                                     // 0000000060C4: 7EB4415A
	v_mfma_f32_32x32x16_bf16 v[32:47], v[204:207], v[172:175], v[32:47]// 0000000060C8: D3B70020 048359CC
	v_exp_f32_e32 v91, v91                                     // 0000000060D0: 7EB6415B
	v_exp_f32_e32 v92, v92                                     // 0000000060D4: 7EB8415C
	v_exp_f32_e32 v93, v93                                     // 0000000060D8: 7EBA415D
	v_mfma_f32_32x32x16_bf16 v[32:47], v[224:227], v[176:179], v[32:47]// 0000000060DC: D3B70020 048361E0
	v_exp_f32_e32 v94, v94                                     // 0000000060E4: 7EBC415E
	v_exp_f32_e32 v95, v95                                     // 0000000060E8: 7EBE415F
	v_mul_f32_e32 v18, v16, v18                                // 0000000060EC: 0A242510
	v_add_f32_e32 v19, v65, v64                                // 0000000060F0: 02268141
	v_mfma_f32_32x32x16_bf16 v[32:47], v[228:231], v[180:183], v[32:47]// 0000000060F4: D3B70020 048369E4
	v_add_f32_e32 v19, v66, v19                                // 0000000060FC: 02262742
	v_add_f32_e32 v19, v67, v19                                // 000000006100: 02262743
	v_add_f32_e32 v19, v68, v19                                // 000000006104: 02262744
	;; [unrolled: 1-line block ×3, first 2 shown]
	v_add_f32_e32 v19, v70, v19                                // 00000000610C: 02262746
	v_add_f32_e32 v19, v71, v19                                // 000000006110: 02262747
	v_mfma_f32_32x32x16_bf16 v[32:47], v[232:235], v[184:187], v[32:47]// 000000006114: D3B70020 048371E8
	v_add_f32_e32 v19, v72, v19                                // 00000000611C: 02262748
	v_add_f32_e32 v19, v73, v19                                // 000000006120: 02262749
	v_add_f32_e32 v19, v74, v19                                // 000000006124: 0226274A
	v_add_f32_e32 v19, v75, v19                                // 000000006128: 0226274B
	v_add_f32_e32 v19, v76, v19                                // 00000000612C: 0226274C
	v_add_f32_e32 v19, v77, v19                                // 000000006130: 0226274D
	v_mfma_f32_32x32x16_bf16 v[32:47], v[236:239], v[188:191], v[32:47]// 000000006134: D3B70020 048379EC
	v_add_f32_e32 v19, v78, v19                                // 00000000613C: 0226274E
	v_add_f32_e32 v19, v79, v19                                // 000000006140: 0226274F
	v_add_f32_e32 v19, v80, v19                                // 000000006144: 02262750
	v_add_f32_e32 v19, v81, v19                                // 000000006148: 02262751
	v_add_f32_e32 v19, v82, v19                                // 00000000614C: 02262752
	v_add_f32_e32 v19, v83, v19                                // 000000006150: 02262753
	v_mfma_f32_32x32x16_bf16 v[48:63], v[208:211], v[160:163], 0// 000000006154: D3B70030 020341D0
	v_add_f32_e32 v19, v84, v19                                // 00000000615C: 02262754
	v_add_f32_e32 v19, v85, v19                                // 000000006160: 02262755
	v_add_f32_e32 v19, v86, v19                                // 000000006164: 02262756
	;; [unrolled: 1-line block ×3, first 2 shown]
	v_add_f32_e32 v19, v88, v19                                // 00000000616C: 02262758
	v_add_f32_e32 v19, v89, v19                                // 000000006170: 02262759
	v_mfma_f32_32x32x16_bf16 v[48:63], v[212:215], v[164:167], v[48:63]// 000000006174: D3B70030 04C349D4
	v_add_f32_e32 v19, v90, v19                                // 00000000617C: 0226275A
	v_add_f32_e32 v19, v91, v19                                // 000000006180: 0226275B
	v_add_f32_e32 v19, v92, v19                                // 000000006184: 0226275C
	v_add_f32_e32 v19, v93, v19                                // 000000006188: 0226275D
	v_add_f32_e32 v19, v94, v19                                // 00000000618C: 0226275E
	v_add_f32_e32 v19, v95, v19                                // 000000006190: 0226275F
	v_mfma_f32_32x32x16_bf16 v[48:63], v[216:219], v[168:171], v[48:63]// 000000006194: D3B70030 04C351D8
	v_mov_b32_e32 v20, v19                                     // 00000000619C: 7E280313
	v_mul_f32_e32 v96, v16, v96                                // 0000000061A0: 0AC0C110
	v_mul_f32_e32 v97, v16, v97                                // 0000000061A4: 0AC2C310
	v_permlane32_swap_b32_e32 v20, v19                         // 0000000061A8: 7E28B513
	v_add_f32_e32 v20, v20, v19                                // 0000000061AC: 02282714
	v_mfma_f32_32x32x16_bf16 v[48:63], v[220:223], v[172:175], v[48:63]// 0000000061B0: D3B70030 04C359DC
	v_add_f32_e32 v18, v20, v18                                // 0000000061B8: 02242514
	v_mul_f32_e32 v98, v16, v98                                // 0000000061BC: 0AC4C510
	v_mul_f32_e32 v99, v16, v99                                // 0000000061C0: 0AC6C710
	v_mul_f32_e32 v100, v16, v100                              // 0000000061C4: 0AC8C910
	v_mul_f32_e32 v101, v16, v101                              // 0000000061C8: 0ACACB10
	v_mul_f32_e32 v102, v16, v102                              // 0000000061CC: 0ACCCD10
	v_mfma_f32_32x32x16_bf16 v[48:63], v[240:243], v[176:179], v[48:63]// 0000000061D0: D3B70030 04C361F0
	v_mul_f32_e32 v103, v16, v103                              // 0000000061D8: 0ACECF10
	v_mul_f32_e32 v104, v16, v104                              // 0000000061DC: 0AD0D110
	v_mul_f32_e32 v105, v16, v105                              // 0000000061E0: 0AD2D310
	v_mul_f32_e32 v106, v16, v106                              // 0000000061E4: 0AD4D510
	v_mul_f32_e32 v107, v16, v107                              // 0000000061E8: 0AD6D710
	v_mul_f32_e32 v108, v16, v108                              // 0000000061EC: 0AD8D910
	v_mfma_f32_32x32x16_bf16 v[48:63], v[244:247], v[180:183], v[48:63]// 0000000061F0: D3B70030 04C369F4
	v_mul_f32_e32 v109, v16, v109                              // 0000000061F8: 0ADADB10
	v_cvt_pk_bf16_f32 v64, v64, v65                            // 0000000061FC: D2680040 00028340
	v_cvt_pk_bf16_f32 v65, v66, v67                            // 000000006204: D2680041 00028742
	v_cvt_pk_bf16_f32 v66, v68, v69                            // 00000000620C: D2680042 00028B44
	v_cvt_pk_bf16_f32 v67, v70, v71                            // 000000006214: D2680043 00028F46
	v_cvt_pk_bf16_f32 v68, v72, v73                            // 00000000621C: D2680044 00029348
	v_mfma_f32_32x32x16_bf16 v[48:63], v[248:251], v[184:187], v[48:63]// 000000006224: D3B70030 04C371F8
	v_cvt_pk_bf16_f32 v69, v74, v75                            // 00000000622C: D2680045 0002974A
	v_cvt_pk_bf16_f32 v70, v76, v77                            // 000000006234: D2680046 00029B4C
	v_cvt_pk_bf16_f32 v71, v78, v79                            // 00000000623C: D2680047 00029F4E
	v_cvt_pk_bf16_f32 v72, v80, v81                            // 000000006244: D2680048 0002A350
	v_cvt_pk_bf16_f32 v73, v82, v83                            // 00000000624C: D2680049 0002A752
	v_cvt_pk_bf16_f32 v74, v84, v85                            // 000000006254: D268004A 0002AB54
	v_mfma_f32_32x32x16_bf16 v[48:63], v[252:255], v[188:191], v[48:63]// 00000000625C: D3B70030 04C379FC
	v_cvt_pk_bf16_f32 v75, v86, v87                            // 000000006264: D268004B 0002AF56
	v_cvt_pk_bf16_f32 v76, v88, v89                            // 00000000626C: D268004C 0002B358
	v_cvt_pk_bf16_f32 v77, v90, v91                            // 000000006274: D268004D 0002B75A
	v_cvt_pk_bf16_f32 v78, v92, v93                            // 00000000627C: D268004E 0002BB5C
	v_cvt_pk_bf16_f32 v79, v94, v95                            // 000000006284: D268004F 0002BF5E
	s_barrier                                                  // 00000000628C: BF8A0000
	s_cmp_lt_i32 s52, s54                                      // 000000006290: BF043634
	s_cbranch_scc1 label_0C69                                  // 000000006294: BF850083
	s_sub_i32 s40, s7, s52                                     // 000000006298: 81A83407
	v_sub_i32 v12, s40, v26                                    // 00000000629C: D29D000C 00023428
	v_cmp_lt_i32_e64 s[68:69], 0, v12                          // 0000000062A4: D0C10044 00021880
	v_cmp_lt_i32_e64 s[70:71], 1, v12                          // 0000000062AC: D0C10046 00021881
	v_cndmask_b32_e64 v32, v27, v32, s[68:69]                  // 0000000062B4: D1000020 0112411B
	v_cndmask_b32_e64 v33, v27, v33, s[70:71]                  // 0000000062BC: D1000021 011A431B
	v_cmp_lt_i32_e64 s[68:69], 2, v12                          // 0000000062C4: D0C10044 00021882
	v_cmp_lt_i32_e64 s[70:71], 3, v12                          // 0000000062CC: D0C10046 00021883
	v_cndmask_b32_e64 v34, v27, v34, s[68:69]                  // 0000000062D4: D1000022 0112451B
	v_cndmask_b32_e64 v35, v27, v35, s[70:71]                  // 0000000062DC: D1000023 011A471B
	v_cmp_lt_i32_e64 s[68:69], 8, v12                          // 0000000062E4: D0C10044 00021888
	v_cmp_lt_i32_e64 s[70:71], 9, v12                          // 0000000062EC: D0C10046 00021889
	v_cndmask_b32_e64 v36, v27, v36, s[68:69]                  // 0000000062F4: D1000024 0112491B
	v_cndmask_b32_e64 v37, v27, v37, s[70:71]                  // 0000000062FC: D1000025 011A4B1B
	v_cmp_lt_i32_e64 s[68:69], 10, v12                         // 000000006304: D0C10044 0002188A
	v_cmp_lt_i32_e64 s[70:71], 11, v12                         // 00000000630C: D0C10046 0002188B
	v_cndmask_b32_e64 v38, v27, v38, s[68:69]                  // 000000006314: D1000026 01124D1B
	v_cndmask_b32_e64 v39, v27, v39, s[70:71]                  // 00000000631C: D1000027 011A4F1B
	v_cmp_lt_i32_e64 s[68:69], 16, v12                         // 000000006324: D0C10044 00021890
	v_cmp_lt_i32_e64 s[70:71], 17, v12                         // 00000000632C: D0C10046 00021891
	v_cndmask_b32_e64 v40, v27, v40, s[68:69]                  // 000000006334: D1000028 0112511B
	v_cndmask_b32_e64 v41, v27, v41, s[70:71]                  // 00000000633C: D1000029 011A531B
	v_cmp_lt_i32_e64 s[68:69], 18, v12                         // 000000006344: D0C10044 00021892
	v_cmp_lt_i32_e64 s[70:71], 19, v12                         // 00000000634C: D0C10046 00021893
	v_cndmask_b32_e64 v42, v27, v42, s[68:69]                  // 000000006354: D100002A 0112551B
	v_cndmask_b32_e64 v43, v27, v43, s[70:71]                  // 00000000635C: D100002B 011A571B
	v_cmp_lt_i32_e64 s[68:69], 24, v12                         // 000000006364: D0C10044 00021898
	v_cmp_lt_i32_e64 s[70:71], 25, v12                         // 00000000636C: D0C10046 00021899
	v_cndmask_b32_e64 v44, v27, v44, s[68:69]                  // 000000006374: D100002C 0112591B
	v_cndmask_b32_e64 v45, v27, v45, s[70:71]                  // 00000000637C: D100002D 011A5B1B
	v_cmp_lt_i32_e64 s[68:69], 26, v12                         // 000000006384: D0C10044 0002189A
	v_cmp_lt_i32_e64 s[70:71], 27, v12                         // 00000000638C: D0C10046 0002189B
	v_cndmask_b32_e64 v46, v27, v46, s[68:69]                  // 000000006394: D100002E 01125D1B
	v_cndmask_b32_e64 v47, v27, v47, s[70:71]                  // 00000000639C: D100002F 011A5F1B
	v_cmp_lt_i32_e64 s[68:69], 32, v12                         // 0000000063A4: D0C10044 000218A0
	v_cmp_lt_i32_e64 s[70:71], 33, v12                         // 0000000063AC: D0C10046 000218A1
	v_cndmask_b32_e64 v48, v27, v48, s[68:69]                  // 0000000063B4: D1000030 0112611B
	v_cndmask_b32_e64 v49, v27, v49, s[70:71]                  // 0000000063BC: D1000031 011A631B
	v_cmp_lt_i32_e64 s[68:69], 34, v12                         // 0000000063C4: D0C10044 000218A2
	v_cmp_lt_i32_e64 s[70:71], 35, v12                         // 0000000063CC: D0C10046 000218A3
	v_cndmask_b32_e64 v50, v27, v50, s[68:69]                  // 0000000063D4: D1000032 0112651B
	v_cndmask_b32_e64 v51, v27, v51, s[70:71]                  // 0000000063DC: D1000033 011A671B
	v_cmp_lt_i32_e64 s[68:69], 40, v12                         // 0000000063E4: D0C10044 000218A8
	v_cmp_lt_i32_e64 s[70:71], 41, v12                         // 0000000063EC: D0C10046 000218A9
	v_cndmask_b32_e64 v52, v27, v52, s[68:69]                  // 0000000063F4: D1000034 0112691B
	v_cndmask_b32_e64 v53, v27, v53, s[70:71]                  // 0000000063FC: D1000035 011A6B1B
	v_cmp_lt_i32_e64 s[68:69], 42, v12                         // 000000006404: D0C10044 000218AA
	v_cmp_lt_i32_e64 s[70:71], 43, v12                         // 00000000640C: D0C10046 000218AB
	v_cndmask_b32_e64 v54, v27, v54, s[68:69]                  // 000000006414: D1000036 01126D1B
	v_cndmask_b32_e64 v55, v27, v55, s[70:71]                  // 00000000641C: D1000037 011A6F1B
	v_cmp_lt_i32_e64 s[68:69], 48, v12                         // 000000006424: D0C10044 000218B0
	v_cmp_lt_i32_e64 s[70:71], 49, v12                         // 00000000642C: D0C10046 000218B1
	v_cndmask_b32_e64 v56, v27, v56, s[68:69]                  // 000000006434: D1000038 0112711B
	v_cndmask_b32_e64 v57, v27, v57, s[70:71]                  // 00000000643C: D1000039 011A731B
	v_cmp_lt_i32_e64 s[68:69], 50, v12                         // 000000006444: D0C10044 000218B2
	v_cmp_lt_i32_e64 s[70:71], 51, v12                         // 00000000644C: D0C10046 000218B3
	v_cndmask_b32_e64 v58, v27, v58, s[68:69]                  // 000000006454: D100003A 0112751B
	v_cndmask_b32_e64 v59, v27, v59, s[70:71]                  // 00000000645C: D100003B 011A771B
	v_cmp_lt_i32_e64 s[68:69], 56, v12                         // 000000006464: D0C10044 000218B8
	v_cmp_lt_i32_e64 s[70:71], 57, v12                         // 00000000646C: D0C10046 000218B9
	v_cndmask_b32_e64 v60, v27, v60, s[68:69]                  // 000000006474: D100003C 0112791B
	v_cndmask_b32_e64 v61, v27, v61, s[70:71]                  // 00000000647C: D100003D 011A7B1B
	v_cmp_lt_i32_e64 s[68:69], 58, v12                         // 000000006484: D0C10044 000218BA
	v_cmp_lt_i32_e64 s[70:71], 59, v12                         // 00000000648C: D0C10046 000218BB
	v_cndmask_b32_e64 v62, v27, v62, s[68:69]                  // 000000006494: D100003E 01127D1B
	v_cndmask_b32_e64 v63, v27, v63, s[70:71]                  // 00000000649C: D100003F 011A7F1B

00000000000064a4 <label_0C69>:
	s_mov_b32 m0, s64                                          // 0000000064A4: BEFC0040
	buffer_load_dwordx4 v4, s[12:15], s34 offen lds            // 0000000064A8: E05D1000 22030004
	s_add_u32 m0, 0x2080, m0                                   // 0000000064B0: 807C7CFF 00002080
	buffer_load_dwordx4 v5, s[12:15], s34 offen lds            // 0000000064B8: E05D1000 22030005
	s_add_u32 m0, 0x2080, m0                                   // 0000000064C0: 807C7CFF 00002080
	s_add_i32 s34, s43, s34                                    // 0000000064C8: 8122222B
	s_nop 0                                                    // 0000000064CC: BF800000
	s_add_u32 s40, 0x100, s39                                  // 0000000064D0: 802827FF 00000100
	s_nop 0                                                    // 0000000064D8: BF800000
	s_cmp_lt_u32 s40, s38                                      // 0000000064DC: BF0A2628
	s_cselect_b32 s43, s43, 0                                  // 0000000064E0: 852B802B
	s_nop 15                                                   // 0000000064E4: BF80000F
	s_nop 8                                                    // 0000000064E8: BF800008
	s_nop 7                                                    // 0000000064EC: BF800007
	ds_read_b64_tr_b16 v[192:193], v11                         // 0000000064F0: D9C60000 C000000B
	ds_read_b64_tr_b16 v[194:195], v11 offset:512              // 0000000064F8: D9C60200 C200000B
	ds_read_b64_tr_b16 v[208:209], v11 offset:64               // 000000006500: D9C60040 D000000B
	ds_read_b64_tr_b16 v[210:211], v11 offset:576              // 000000006508: D9C60240 D200000B
	ds_read_b64_tr_b16 v[196:197], v11 offset:2176             // 000000006510: D9C60880 C400000B
	ds_read_b64_tr_b16 v[198:199], v11 offset:2688             // 000000006518: D9C60A80 C600000B
	ds_read_b64_tr_b16 v[212:213], v11 offset:2240             // 000000006520: D9C608C0 D400000B
	ds_read_b64_tr_b16 v[214:215], v11 offset:2752             // 000000006528: D9C60AC0 D600000B
	ds_read_b64_tr_b16 v[200:201], v11 offset:4352             // 000000006530: D9C61100 C800000B
	ds_read_b64_tr_b16 v[202:203], v11 offset:4864             // 000000006538: D9C61300 CA00000B
	ds_read_b64_tr_b16 v[216:217], v11 offset:4416             // 000000006540: D9C61140 D800000B
	ds_read_b64_tr_b16 v[218:219], v11 offset:4928             // 000000006548: D9C61340 DA00000B
	ds_read_b64_tr_b16 v[204:205], v11 offset:6528             // 000000006550: D9C61980 CC00000B
	ds_read_b64_tr_b16 v[206:207], v11 offset:7040             // 000000006558: D9C61B80 CE00000B
	ds_read_b64_tr_b16 v[220:221], v11 offset:6592             // 000000006560: D9C619C0 DC00000B
	ds_read_b64_tr_b16 v[222:223], v11 offset:7104             // 000000006568: D9C61BC0 DE00000B
	ds_read_b64_tr_b16 v[224:225], v11 offset:8704             // 000000006570: D9C62200 E000000B
	ds_read_b64_tr_b16 v[226:227], v11 offset:9216             // 000000006578: D9C62400 E200000B
	ds_read_b64_tr_b16 v[240:241], v11 offset:8768             // 000000006580: D9C62240 F000000B
	ds_read_b64_tr_b16 v[242:243], v11 offset:9280             // 000000006588: D9C62440 F200000B
	ds_read_b64_tr_b16 v[228:229], v11 offset:10880            // 000000006590: D9C62A80 E400000B
	ds_read_b64_tr_b16 v[230:231], v11 offset:11392            // 000000006598: D9C62C80 E600000B
	ds_read_b64_tr_b16 v[244:245], v11 offset:10944            // 0000000065A0: D9C62AC0 F400000B
	ds_read_b64_tr_b16 v[246:247], v11 offset:11456            // 0000000065A8: D9C62CC0 F600000B
	ds_read_b64_tr_b16 v[232:233], v11 offset:13056            // 0000000065B0: D9C63300 E800000B
	ds_read_b64_tr_b16 v[234:235], v11 offset:13568            // 0000000065B8: D9C63500 EA00000B
	ds_read_b64_tr_b16 v[248:249], v11 offset:13120            // 0000000065C0: D9C63340 F800000B
	ds_read_b64_tr_b16 v[250:251], v11 offset:13632            // 0000000065C8: D9C63540 FA00000B
	ds_read_b64_tr_b16 v[236:237], v11 offset:15232            // 0000000065D0: D9C63B80 EC00000B
	ds_read_b64_tr_b16 v[238:239], v11 offset:15744            // 0000000065D8: D9C63D80 EE00000B
	ds_read_b64_tr_b16 v[252:253], v11 offset:15296            // 0000000065E0: D9C63BC0 FC00000B
	ds_read_b64_tr_b16 v[254:255], v11 offset:15808            // 0000000065E8: D9C63DC0 FE00000B
	s_add_i32 s52, s52, s53                                    // 0000000065F0: 81343534
	s_addk_i32 s39, 0x40                                       // 0000000065F4: B7270040
	s_cmp_lt_i32 s39, s38                                      // 0000000065F8: BF042627
	s_waitcnt vmcnt(4) lgkmcnt(0)                              // 0000000065FC: BF8C0074
	s_barrier                                                  // 000000006600: BF8A0000
	v_mfma_f32_32x32x16_bf16 v[96:111], v[192:195], v[64:67], v[96:111]// 000000006604: D3B70060 058281C0
	v_mov_b32_e32 v21, v24                                     // 00000000660C: 7E2A0318
	v_max3_f32 v21, v32, v33, v21                              // 000000006610: D1D30015 04564320
	v_max3_f32 v21, v34, v35, v21                              // 000000006618: D1D30015 04564722
	v_max3_f32 v21, v36, v37, v21                              // 000000006620: D1D30015 04564B24
	v_max3_f32 v21, v38, v39, v21                              // 000000006628: D1D30015 04564F26
	v_max3_f32 v21, v40, v41, v21                              // 000000006630: D1D30015 04565328
	v_mfma_f32_32x32x16_bf16 v[96:111], v[196:199], v[68:71], v[96:111]// 000000006638: D3B70060 058289C4
	v_max3_f32 v21, v42, v43, v21                              // 000000006640: D1D30015 0456572A
	v_max3_f32 v21, v44, v45, v21                              // 000000006648: D1D30015 04565B2C
	v_max3_f32 v21, v46, v47, v21                              // 000000006650: D1D30015 04565F2E
	v_max3_f32 v21, v48, v49, v21                              // 000000006658: D1D30015 04566330
	v_max3_f32 v21, v50, v51, v21                              // 000000006660: D1D30015 04566732
	v_max3_f32 v21, v52, v53, v21                              // 000000006668: D1D30015 04566B34
	v_mfma_f32_32x32x16_bf16 v[96:111], v[200:203], v[72:75], v[96:111]// 000000006670: D3B70060 058291C8
	v_max3_f32 v21, v54, v55, v21                              // 000000006678: D1D30015 04566F36
	v_max3_f32 v21, v56, v57, v21                              // 000000006680: D1D30015 04567338
	v_max3_f32 v21, v58, v59, v21                              // 000000006688: D1D30015 0456773A
	v_max3_f32 v21, v60, v61, v21                              // 000000006690: D1D30015 04567B3C
	v_max3_f32 v21, v62, v63, v21                              // 000000006698: D1D30015 04567F3E
	v_mov_b32_e32 v20, v21                                     // 0000000066A0: 7E280315
	v_mfma_f32_32x32x16_bf16 v[96:111], v[204:207], v[76:79], v[96:111]// 0000000066A4: D3B70060 058299CC
	v_nop                                                      // 0000000066AC: 7E000000
	v_nop                                                      // 0000000066B0: 7E000000
	v_permlane32_swap_b32_e32 v20, v21                         // 0000000066B4: 7E28B515
	v_max_f32_e32 v21, v20, v21                                // 0000000066B8: 162A2B14
	v_sub_f32_e32 v16, v24, v21                                // 0000000066BC: 04202B18
	v_mfma_f32_32x32x16_bf16 v[112:127], v[208:211], v[64:67], v[112:127]// 0000000066C0: D3B70070 05C281D0
	v_mov_b32_e32 v24, v21                                     // 0000000066C8: 7E300315
	v_mul_f32_e32 v23, s37, v21                                // 0000000066CC: 0A2E2A25
	v_mul_f32_e32 v16, s37, v16                                // 0000000066D0: 0A202025
	v_exp_f32_e32 v16, v16                                     // 0000000066D4: 7E204110
	v_fma_f32 v32, v32, s37, -v23                              // 0000000066D8: D1CB0020 845C4B20
	v_mfma_f32_32x32x16_bf16 v[112:127], v[212:215], v[68:71], v[112:127]// 0000000066E0: D3B70070 05C289D4
	v_fma_f32 v33, v33, s37, -v23                              // 0000000066E8: D1CB0021 845C4B21
	v_fma_f32 v34, v34, s37, -v23                              // 0000000066F0: D1CB0022 845C4B22
	v_fma_f32 v35, v35, s37, -v23                              // 0000000066F8: D1CB0023 845C4B23
	v_fma_f32 v36, v36, s37, -v23                              // 000000006700: D1CB0024 845C4B24
	v_fma_f32 v37, v37, s37, -v23                              // 000000006708: D1CB0025 845C4B25
	v_fma_f32 v38, v38, s37, -v23                              // 000000006710: D1CB0026 845C4B26
	v_mfma_f32_32x32x16_bf16 v[112:127], v[216:219], v[72:75], v[112:127]// 000000006718: D3B70070 05C291D8
	v_fma_f32 v39, v39, s37, -v23                              // 000000006720: D1CB0027 845C4B27
	v_fma_f32 v40, v40, s37, -v23                              // 000000006728: D1CB0028 845C4B28
	v_fma_f32 v41, v41, s37, -v23                              // 000000006730: D1CB0029 845C4B29
	v_fma_f32 v42, v42, s37, -v23                              // 000000006738: D1CB002A 845C4B2A
	v_fma_f32 v43, v43, s37, -v23                              // 000000006740: D1CB002B 845C4B2B
	v_fma_f32 v44, v44, s37, -v23                              // 000000006748: D1CB002C 845C4B2C
	v_mfma_f32_32x32x16_bf16 v[112:127], v[220:223], v[76:79], v[112:127]// 000000006750: D3B70070 05C299DC
	v_fma_f32 v45, v45, s37, -v23                              // 000000006758: D1CB002D 845C4B2D
	v_fma_f32 v46, v46, s37, -v23                              // 000000006760: D1CB002E 845C4B2E
	v_fma_f32 v47, v47, s37, -v23                              // 000000006768: D1CB002F 845C4B2F
	v_fma_f32 v48, v48, s37, -v23                              // 000000006770: D1CB0030 845C4B30
	v_fma_f32 v49, v49, s37, -v23                              // 000000006778: D1CB0031 845C4B31
	v_fma_f32 v50, v50, s37, -v23                              // 000000006780: D1CB0032 845C4B32
	v_mfma_f32_32x32x16_bf16 v[128:143], v[224:227], v[64:67], v[128:143]// 000000006788: D3B70080 060281E0
	v_fma_f32 v51, v51, s37, -v23                              // 000000006790: D1CB0033 845C4B33
	v_fma_f32 v52, v52, s37, -v23                              // 000000006798: D1CB0034 845C4B34
	v_fma_f32 v53, v53, s37, -v23                              // 0000000067A0: D1CB0035 845C4B35
	v_fma_f32 v54, v54, s37, -v23                              // 0000000067A8: D1CB0036 845C4B36
	v_fma_f32 v55, v55, s37, -v23                              // 0000000067B0: D1CB0037 845C4B37
	v_fma_f32 v56, v56, s37, -v23                              // 0000000067B8: D1CB0038 845C4B38
	v_mfma_f32_32x32x16_bf16 v[128:143], v[228:231], v[68:71], v[128:143]// 0000000067C0: D3B70080 060289E4
	v_fma_f32 v57, v57, s37, -v23                              // 0000000067C8: D1CB0039 845C4B39
	v_fma_f32 v58, v58, s37, -v23                              // 0000000067D0: D1CB003A 845C4B3A
	v_fma_f32 v59, v59, s37, -v23                              // 0000000067D8: D1CB003B 845C4B3B
	v_fma_f32 v60, v60, s37, -v23                              // 0000000067E0: D1CB003C 845C4B3C
	v_fma_f32 v61, v61, s37, -v23                              // 0000000067E8: D1CB003D 845C4B3D
	v_fma_f32 v62, v62, s37, -v23                              // 0000000067F0: D1CB003E 845C4B3E
	v_mfma_f32_32x32x16_bf16 v[128:143], v[232:235], v[72:75], v[128:143]// 0000000067F8: D3B70080 060291E8
	v_fma_f32 v63, v63, s37, -v23                              // 000000006800: D1CB003F 845C4B3F
	v_exp_f32_e32 v32, v32                                     // 000000006808: 7E404120
	v_exp_f32_e32 v33, v33                                     // 00000000680C: 7E424121
	v_exp_f32_e32 v34, v34                                     // 000000006810: 7E444122
	v_mfma_f32_32x32x16_bf16 v[128:143], v[236:239], v[76:79], v[128:143]// 000000006814: D3B70080 060299EC
	v_exp_f32_e32 v35, v35                                     // 00000000681C: 7E464123
	v_exp_f32_e32 v36, v36                                     // 000000006820: 7E484124
	v_exp_f32_e32 v37, v37                                     // 000000006824: 7E4A4125
	v_mfma_f32_32x32x16_bf16 v[144:159], v[240:243], v[64:67], v[144:159]// 000000006828: D3B70090 064281F0
	v_exp_f32_e32 v38, v38                                     // 000000006830: 7E4C4126
	v_exp_f32_e32 v39, v39                                     // 000000006834: 7E4E4127
	v_exp_f32_e32 v40, v40                                     // 000000006838: 7E504128
	v_mfma_f32_32x32x16_bf16 v[144:159], v[244:247], v[68:71], v[144:159]// 00000000683C: D3B70090 064289F4
	v_exp_f32_e32 v41, v41                                     // 000000006844: 7E524129
	v_exp_f32_e32 v42, v42                                     // 000000006848: 7E54412A
	v_exp_f32_e32 v43, v43                                     // 00000000684C: 7E56412B
	v_mfma_f32_32x32x16_bf16 v[144:159], v[248:251], v[72:75], v[144:159]// 000000006850: D3B70090 064291F8
	v_exp_f32_e32 v44, v44                                     // 000000006858: 7E58412C
	v_exp_f32_e32 v45, v45                                     // 00000000685C: 7E5A412D
	v_exp_f32_e32 v46, v46                                     // 000000006860: 7E5C412E
	v_mfma_f32_32x32x16_bf16 v[144:159], v[252:255], v[76:79], v[144:159]// 000000006864: D3B70090 064299FC
	v_exp_f32_e32 v47, v47                                     // 00000000686C: 7E5E412F
	v_exp_f32_e32 v48, v48                                     // 000000006870: 7E604130
	v_exp_f32_e32 v49, v49                                     // 000000006874: 7E624131
	v_nop                                                      // 000000006878: 7E000000
	v_mov_b32_e32 v17, v16                                     // 00000000687C: 7E220310
	v_mul_f32_e32 v110, v16, v110                              // 000000006880: 0ADCDD10
	v_mul_f32_e32 v111, v16, v111                              // 000000006884: 0ADEDF10
	v_pk_mul_f32 v[112:113], v[16:17], v[112:113]              // 000000006888: D3B14070 1802E110
	v_pk_mul_f32 v[114:115], v[16:17], v[114:115]              // 000000006890: D3B14072 1802E510
	v_pk_mul_f32 v[116:117], v[16:17], v[116:117]              // 000000006898: D3B14074 1802E910
	v_pk_mul_f32 v[118:119], v[16:17], v[118:119]              // 0000000068A0: D3B14076 1802ED10
	v_pk_mul_f32 v[120:121], v[16:17], v[120:121]              // 0000000068A8: D3B14078 1802F110
	v_pk_mul_f32 v[122:123], v[16:17], v[122:123]              // 0000000068B0: D3B1407A 1802F510
	v_pk_mul_f32 v[124:125], v[16:17], v[124:125]              // 0000000068B8: D3B1407C 1802F910
	v_pk_mul_f32 v[126:127], v[16:17], v[126:127]              // 0000000068C0: D3B1407E 1802FD10
	v_pk_mul_f32 v[128:129], v[16:17], v[128:129]              // 0000000068C8: D3B14080 18030110
	v_pk_mul_f32 v[130:131], v[16:17], v[130:131]              // 0000000068D0: D3B14082 18030510
	v_pk_mul_f32 v[132:133], v[16:17], v[132:133]              // 0000000068D8: D3B14084 18030910
	v_pk_mul_f32 v[134:135], v[16:17], v[134:135]              // 0000000068E0: D3B14086 18030D10
	v_pk_mul_f32 v[136:137], v[16:17], v[136:137]              // 0000000068E8: D3B14088 18031110
	v_pk_mul_f32 v[138:139], v[16:17], v[138:139]              // 0000000068F0: D3B1408A 18031510
	v_pk_mul_f32 v[140:141], v[16:17], v[140:141]              // 0000000068F8: D3B1408C 18031910
	v_pk_mul_f32 v[142:143], v[16:17], v[142:143]              // 000000006900: D3B1408E 18031D10
	v_pk_mul_f32 v[144:145], v[16:17], v[144:145]              // 000000006908: D3B14090 18032110
	v_pk_mul_f32 v[146:147], v[16:17], v[146:147]              // 000000006910: D3B14092 18032510
	v_pk_mul_f32 v[148:149], v[16:17], v[148:149]              // 000000006918: D3B14094 18032910
	v_pk_mul_f32 v[150:151], v[16:17], v[150:151]              // 000000006920: D3B14096 18032D10
	v_pk_mul_f32 v[152:153], v[16:17], v[152:153]              // 000000006928: D3B14098 18033110
	v_pk_mul_f32 v[154:155], v[16:17], v[154:155]              // 000000006930: D3B1409A 18033510
	v_pk_mul_f32 v[156:157], v[16:17], v[156:157]              // 000000006938: D3B1409C 18033910
	v_pk_mul_f32 v[158:159], v[16:17], v[158:159]              // 000000006940: D3B1409E 18033D10
	s_cbranch_scc0 label_0D94                                  // 000000006948: BF840001
	s_branch label_08CF                                        // 00000000694C: BF82FB3B

0000000000006950 <label_0D94>:
	s_add_u32 s40, s38, 63                                     // 000000006950: 8028BF26
	s_lshr_b32 s40, s40, 6                                     // 000000006954: 8F288628
	s_and_b32 s40, 1, s40                                      // 000000006958: 86282881
	s_cmp_lt_i32 s40, 1                                        // 00000000695C: BF048128
	s_cbranch_scc0 label_0E5D                                  // 000000006960: BF8400C4
	s_waitcnt vmcnt(2)                                         // 000000006964: BF8C0F72
	s_barrier                                                  // 000000006968: BF8A0000
	ds_read_b64_tr_b16 v[192:193], v11                         // 00000000696C: D9C60000 C000000B
	ds_read_b64_tr_b16 v[194:195], v11 offset:512              // 000000006974: D9C60200 C200000B
	ds_read_b64_tr_b16 v[208:209], v11 offset:64               // 00000000697C: D9C60040 D000000B
	ds_read_b64_tr_b16 v[210:211], v11 offset:576              // 000000006984: D9C60240 D200000B
	ds_read_b64_tr_b16 v[196:197], v11 offset:2176             // 00000000698C: D9C60880 C400000B
	ds_read_b64_tr_b16 v[198:199], v11 offset:2688             // 000000006994: D9C60A80 C600000B
	ds_read_b64_tr_b16 v[212:213], v11 offset:2240             // 00000000699C: D9C608C0 D400000B
	ds_read_b64_tr_b16 v[214:215], v11 offset:2752             // 0000000069A4: D9C60AC0 D600000B
	ds_read_b64_tr_b16 v[200:201], v11 offset:4352             // 0000000069AC: D9C61100 C800000B
	ds_read_b64_tr_b16 v[202:203], v11 offset:4864             // 0000000069B4: D9C61300 CA00000B
	ds_read_b64_tr_b16 v[216:217], v11 offset:4416             // 0000000069BC: D9C61140 D800000B
	ds_read_b64_tr_b16 v[218:219], v11 offset:4928             // 0000000069C4: D9C61340 DA00000B
	ds_read_b64_tr_b16 v[204:205], v11 offset:6528             // 0000000069CC: D9C61980 CC00000B
	ds_read_b64_tr_b16 v[206:207], v11 offset:7040             // 0000000069D4: D9C61B80 CE00000B
	ds_read_b64_tr_b16 v[220:221], v11 offset:6592             // 0000000069DC: D9C619C0 DC00000B
	ds_read_b64_tr_b16 v[222:223], v11 offset:7104             // 0000000069E4: D9C61BC0 DE00000B
	ds_read_b64_tr_b16 v[224:225], v11 offset:8704             // 0000000069EC: D9C62200 E000000B
	ds_read_b64_tr_b16 v[226:227], v11 offset:9216             // 0000000069F4: D9C62400 E200000B
	ds_read_b64_tr_b16 v[240:241], v11 offset:8768             // 0000000069FC: D9C62240 F000000B
	ds_read_b64_tr_b16 v[242:243], v11 offset:9280             // 000000006A04: D9C62440 F200000B
	ds_read_b64_tr_b16 v[228:229], v11 offset:10880            // 000000006A0C: D9C62A80 E400000B
	ds_read_b64_tr_b16 v[230:231], v11 offset:11392            // 000000006A14: D9C62C80 E600000B
	ds_read_b64_tr_b16 v[244:245], v11 offset:10944            // 000000006A1C: D9C62AC0 F400000B
	ds_read_b64_tr_b16 v[246:247], v11 offset:11456            // 000000006A24: D9C62CC0 F600000B
	ds_read_b64_tr_b16 v[232:233], v11 offset:13056            // 000000006A2C: D9C63300 E800000B
	ds_read_b64_tr_b16 v[234:235], v11 offset:13568            // 000000006A34: D9C63500 EA00000B
	ds_read_b64_tr_b16 v[248:249], v11 offset:13120            // 000000006A3C: D9C63340 F800000B
	ds_read_b64_tr_b16 v[250:251], v11 offset:13632            // 000000006A44: D9C63540 FA00000B
	ds_read_b64_tr_b16 v[236:237], v11 offset:15232            // 000000006A4C: D9C63B80 EC00000B
	ds_read_b64_tr_b16 v[238:239], v11 offset:15744            // 000000006A54: D9C63D80 EE00000B
	ds_read_b64_tr_b16 v[252:253], v11 offset:15296            // 000000006A5C: D9C63BC0 FC00000B
	ds_read_b64_tr_b16 v[254:255], v11 offset:15808            // 000000006A64: D9C63DC0 FE00000B
	v_exp_f32_e32 v82, v82                                     // 000000006A6C: 7EA44152
	v_exp_f32_e32 v83, v83                                     // 000000006A70: 7EA64153
	v_exp_f32_e32 v84, v84                                     // 000000006A74: 7EA84154
	v_exp_f32_e32 v85, v85                                     // 000000006A78: 7EAA4155
	v_exp_f32_e32 v86, v86                                     // 000000006A7C: 7EAC4156
	v_exp_f32_e32 v87, v87                                     // 000000006A80: 7EAE4157
	v_exp_f32_e32 v88, v88                                     // 000000006A84: 7EB04158
	v_exp_f32_e32 v89, v89                                     // 000000006A88: 7EB24159
	v_exp_f32_e32 v90, v90                                     // 000000006A8C: 7EB4415A
	v_exp_f32_e32 v91, v91                                     // 000000006A90: 7EB6415B
	v_exp_f32_e32 v92, v92                                     // 000000006A94: 7EB8415C
	v_exp_f32_e32 v93, v93                                     // 000000006A98: 7EBA415D
	v_exp_f32_e32 v94, v94                                     // 000000006A9C: 7EBC415E
	v_exp_f32_e32 v95, v95                                     // 000000006AA0: 7EBE415F
	v_mul_f32_e32 v18, v16, v18                                // 000000006AA4: 0A242510
	v_add_f32_e32 v19, v65, v64                                // 000000006AA8: 02268141
	v_add_f32_e32 v19, v66, v19                                // 000000006AAC: 02262742
	v_add_f32_e32 v19, v67, v19                                // 000000006AB0: 02262743
	v_add_f32_e32 v19, v68, v19                                // 000000006AB4: 02262744
	v_add_f32_e32 v19, v69, v19                                // 000000006AB8: 02262745
	v_add_f32_e32 v19, v70, v19                                // 000000006ABC: 02262746
	v_add_f32_e32 v19, v71, v19                                // 000000006AC0: 02262747
	v_add_f32_e32 v19, v72, v19                                // 000000006AC4: 02262748
	v_add_f32_e32 v19, v73, v19                                // 000000006AC8: 02262749
	v_add_f32_e32 v19, v74, v19                                // 000000006ACC: 0226274A
	v_add_f32_e32 v19, v75, v19                                // 000000006AD0: 0226274B
	v_add_f32_e32 v19, v76, v19                                // 000000006AD4: 0226274C
	v_add_f32_e32 v19, v77, v19                                // 000000006AD8: 0226274D
	v_add_f32_e32 v19, v78, v19                                // 000000006ADC: 0226274E
	v_add_f32_e32 v19, v79, v19                                // 000000006AE0: 0226274F
	v_add_f32_e32 v19, v80, v19                                // 000000006AE4: 02262750
	v_add_f32_e32 v19, v81, v19                                // 000000006AE8: 02262751
	v_add_f32_e32 v19, v82, v19                                // 000000006AEC: 02262752
	v_add_f32_e32 v19, v83, v19                                // 000000006AF0: 02262753
	v_add_f32_e32 v19, v84, v19                                // 000000006AF4: 02262754
	v_add_f32_e32 v19, v85, v19                                // 000000006AF8: 02262755
	v_add_f32_e32 v19, v86, v19                                // 000000006AFC: 02262756
	v_add_f32_e32 v19, v87, v19                                // 000000006B00: 02262757
	v_add_f32_e32 v19, v88, v19                                // 000000006B04: 02262758
	v_add_f32_e32 v19, v89, v19                                // 000000006B08: 02262759
	v_add_f32_e32 v19, v90, v19                                // 000000006B0C: 0226275A
	v_add_f32_e32 v19, v91, v19                                // 000000006B10: 0226275B
	v_add_f32_e32 v19, v92, v19                                // 000000006B14: 0226275C
	v_add_f32_e32 v19, v93, v19                                // 000000006B18: 0226275D
	v_add_f32_e32 v19, v94, v19                                // 000000006B1C: 0226275E
	v_add_f32_e32 v19, v95, v19                                // 000000006B20: 0226275F
	v_mov_b32_e32 v20, v19                                     // 000000006B24: 7E280313
	v_mul_f32_e32 v96, v16, v96                                // 000000006B28: 0AC0C110
	v_mul_f32_e32 v97, v16, v97                                // 000000006B2C: 0AC2C310
	v_permlane32_swap_b32_e32 v20, v19                         // 000000006B30: 7E28B513
	v_add_f32_e32 v20, v20, v19                                // 000000006B34: 02282714
	v_add_f32_e32 v18, v20, v18                                // 000000006B38: 02242514
	v_mul_f32_e32 v98, v16, v98                                // 000000006B3C: 0AC4C510
	v_mul_f32_e32 v99, v16, v99                                // 000000006B40: 0AC6C710
	v_mul_f32_e32 v100, v16, v100                              // 000000006B44: 0AC8C910
	v_mul_f32_e32 v101, v16, v101                              // 000000006B48: 0ACACB10
	v_mul_f32_e32 v102, v16, v102                              // 000000006B4C: 0ACCCD10
	v_mul_f32_e32 v103, v16, v103                              // 000000006B50: 0ACECF10
	v_mul_f32_e32 v104, v16, v104                              // 000000006B54: 0AD0D110
	v_mul_f32_e32 v105, v16, v105                              // 000000006B58: 0AD2D310
	v_mul_f32_e32 v106, v16, v106                              // 000000006B5C: 0AD4D510
	v_mul_f32_e32 v107, v16, v107                              // 000000006B60: 0AD6D710
	v_mul_f32_e32 v108, v16, v108                              // 000000006B64: 0AD8D910
	v_mul_f32_e32 v109, v16, v109                              // 000000006B68: 0ADADB10
	v_cvt_pk_bf16_f32 v64, v64, v65                            // 000000006B6C: D2680040 00028340
	v_cvt_pk_bf16_f32 v65, v66, v67                            // 000000006B74: D2680041 00028742
	v_cvt_pk_bf16_f32 v66, v68, v69                            // 000000006B7C: D2680042 00028B44
	v_cvt_pk_bf16_f32 v67, v70, v71                            // 000000006B84: D2680043 00028F46
	v_cvt_pk_bf16_f32 v68, v72, v73                            // 000000006B8C: D2680044 00029348
	v_cvt_pk_bf16_f32 v69, v74, v75                            // 000000006B94: D2680045 0002974A
	v_cvt_pk_bf16_f32 v70, v76, v77                            // 000000006B9C: D2680046 00029B4C
	v_cvt_pk_bf16_f32 v71, v78, v79                            // 000000006BA4: D2680047 00029F4E
	v_cvt_pk_bf16_f32 v72, v80, v81                            // 000000006BAC: D2680048 0002A350
	v_cvt_pk_bf16_f32 v73, v82, v83                            // 000000006BB4: D2680049 0002A752
	v_cvt_pk_bf16_f32 v74, v84, v85                            // 000000006BBC: D268004A 0002AB54
	v_cvt_pk_bf16_f32 v75, v86, v87                            // 000000006BC4: D268004B 0002AF56
	v_cvt_pk_bf16_f32 v76, v88, v89                            // 000000006BCC: D268004C 0002B358
	v_cvt_pk_bf16_f32 v77, v90, v91                            // 000000006BD4: D268004D 0002B75A
	v_cvt_pk_bf16_f32 v78, v92, v93                            // 000000006BDC: D268004E 0002BB5C
	v_cvt_pk_bf16_f32 v79, v94, v95                            // 000000006BE4: D268004F 0002BF5E
	s_waitcnt lgkmcnt(0)                                       // 000000006BEC: BF8CC07F
	v_mfma_f32_32x32x16_bf16 v[96:111], v[192:195], v[64:67], v[96:111]// 000000006BF0: D3B70060 058281C0
	v_mfma_f32_32x32x16_bf16 v[96:111], v[196:199], v[68:71], v[96:111]// 000000006BF8: D3B70060 058289C4
	v_mfma_f32_32x32x16_bf16 v[96:111], v[200:203], v[72:75], v[96:111]// 000000006C00: D3B70060 058291C8
	v_mfma_f32_32x32x16_bf16 v[96:111], v[204:207], v[76:79], v[96:111]// 000000006C08: D3B70060 058299CC
	v_mfma_f32_32x32x16_bf16 v[112:127], v[208:211], v[64:67], v[112:127]// 000000006C10: D3B70070 05C281D0
	v_mfma_f32_32x32x16_bf16 v[112:127], v[212:215], v[68:71], v[112:127]// 000000006C18: D3B70070 05C289D4
	v_mfma_f32_32x32x16_bf16 v[112:127], v[216:219], v[72:75], v[112:127]// 000000006C20: D3B70070 05C291D8
	v_mfma_f32_32x32x16_bf16 v[112:127], v[220:223], v[76:79], v[112:127]// 000000006C28: D3B70070 05C299DC
	v_mfma_f32_32x32x16_bf16 v[128:143], v[224:227], v[64:67], v[128:143]// 000000006C30: D3B70080 060281E0
	v_mfma_f32_32x32x16_bf16 v[128:143], v[228:231], v[68:71], v[128:143]// 000000006C38: D3B70080 060289E4
	v_mfma_f32_32x32x16_bf16 v[128:143], v[232:235], v[72:75], v[128:143]// 000000006C40: D3B70080 060291E8
	v_mfma_f32_32x32x16_bf16 v[128:143], v[236:239], v[76:79], v[128:143]// 000000006C48: D3B70080 060299EC
	v_mfma_f32_32x32x16_bf16 v[144:159], v[240:243], v[64:67], v[144:159]// 000000006C50: D3B70090 064281F0
	v_mfma_f32_32x32x16_bf16 v[144:159], v[244:247], v[68:71], v[144:159]// 000000006C58: D3B70090 064289F4
	v_mfma_f32_32x32x16_bf16 v[144:159], v[248:251], v[72:75], v[144:159]// 000000006C60: D3B70090 064291F8
	v_mfma_f32_32x32x16_bf16 v[144:159], v[252:255], v[76:79], v[144:159]// 000000006C68: D3B70090 064299FC
	s_branch label_0F20                                        // 000000006C70: BF8200C3

0000000000006c74 <label_0E5D>:
	s_waitcnt vmcnt(2)                                         // 000000006C74: BF8C0F72
	s_barrier                                                  // 000000006C78: BF8A0000
	ds_read_b64_tr_b16 v[192:193], v10                         // 000000006C7C: D9C60000 C000000A
	ds_read_b64_tr_b16 v[194:195], v10 offset:512              // 000000006C84: D9C60200 C200000A
	ds_read_b64_tr_b16 v[208:209], v10 offset:64               // 000000006C8C: D9C60040 D000000A
	ds_read_b64_tr_b16 v[210:211], v10 offset:576              // 000000006C94: D9C60240 D200000A
	ds_read_b64_tr_b16 v[196:197], v10 offset:2176             // 000000006C9C: D9C60880 C400000A
	ds_read_b64_tr_b16 v[198:199], v10 offset:2688             // 000000006CA4: D9C60A80 C600000A
	ds_read_b64_tr_b16 v[212:213], v10 offset:2240             // 000000006CAC: D9C608C0 D400000A
	ds_read_b64_tr_b16 v[214:215], v10 offset:2752             // 000000006CB4: D9C60AC0 D600000A
	ds_read_b64_tr_b16 v[200:201], v10 offset:4352             // 000000006CBC: D9C61100 C800000A
	ds_read_b64_tr_b16 v[202:203], v10 offset:4864             // 000000006CC4: D9C61300 CA00000A
	ds_read_b64_tr_b16 v[216:217], v10 offset:4416             // 000000006CCC: D9C61140 D800000A
	ds_read_b64_tr_b16 v[218:219], v10 offset:4928             // 000000006CD4: D9C61340 DA00000A
	ds_read_b64_tr_b16 v[204:205], v10 offset:6528             // 000000006CDC: D9C61980 CC00000A
	ds_read_b64_tr_b16 v[206:207], v10 offset:7040             // 000000006CE4: D9C61B80 CE00000A
	ds_read_b64_tr_b16 v[220:221], v10 offset:6592             // 000000006CEC: D9C619C0 DC00000A
	ds_read_b64_tr_b16 v[222:223], v10 offset:7104             // 000000006CF4: D9C61BC0 DE00000A
	ds_read_b64_tr_b16 v[224:225], v10 offset:8704             // 000000006CFC: D9C62200 E000000A
	ds_read_b64_tr_b16 v[226:227], v10 offset:9216             // 000000006D04: D9C62400 E200000A
	ds_read_b64_tr_b16 v[240:241], v10 offset:8768             // 000000006D0C: D9C62240 F000000A
	ds_read_b64_tr_b16 v[242:243], v10 offset:9280             // 000000006D14: D9C62440 F200000A
	ds_read_b64_tr_b16 v[228:229], v10 offset:10880            // 000000006D1C: D9C62A80 E400000A
	ds_read_b64_tr_b16 v[230:231], v10 offset:11392            // 000000006D24: D9C62C80 E600000A
	ds_read_b64_tr_b16 v[244:245], v10 offset:10944            // 000000006D2C: D9C62AC0 F400000A
	ds_read_b64_tr_b16 v[246:247], v10 offset:11456            // 000000006D34: D9C62CC0 F600000A
	ds_read_b64_tr_b16 v[232:233], v10 offset:13056            // 000000006D3C: D9C63300 E800000A
	ds_read_b64_tr_b16 v[234:235], v10 offset:13568            // 000000006D44: D9C63500 EA00000A
	ds_read_b64_tr_b16 v[248:249], v10 offset:13120            // 000000006D4C: D9C63340 F800000A
	ds_read_b64_tr_b16 v[250:251], v10 offset:13632            // 000000006D54: D9C63540 FA00000A
	ds_read_b64_tr_b16 v[236:237], v10 offset:15232            // 000000006D5C: D9C63B80 EC00000A
	ds_read_b64_tr_b16 v[238:239], v10 offset:15744            // 000000006D64: D9C63D80 EE00000A
	ds_read_b64_tr_b16 v[252:253], v10 offset:15296            // 000000006D6C: D9C63BC0 FC00000A
	ds_read_b64_tr_b16 v[254:255], v10 offset:15808            // 000000006D74: D9C63DC0 FE00000A
	v_exp_f32_e32 v50, v50                                     // 000000006D7C: 7E644132
	v_exp_f32_e32 v51, v51                                     // 000000006D80: 7E664133
	v_exp_f32_e32 v52, v52                                     // 000000006D84: 7E684134
	v_exp_f32_e32 v53, v53                                     // 000000006D88: 7E6A4135
	v_exp_f32_e32 v54, v54                                     // 000000006D8C: 7E6C4136
	v_exp_f32_e32 v55, v55                                     // 000000006D90: 7E6E4137
	v_exp_f32_e32 v56, v56                                     // 000000006D94: 7E704138
	v_exp_f32_e32 v57, v57                                     // 000000006D98: 7E724139
	v_exp_f32_e32 v58, v58                                     // 000000006D9C: 7E74413A
	v_exp_f32_e32 v59, v59                                     // 000000006DA0: 7E76413B
	v_exp_f32_e32 v60, v60                                     // 000000006DA4: 7E78413C
	v_exp_f32_e32 v61, v61                                     // 000000006DA8: 7E7A413D
	v_exp_f32_e32 v62, v62                                     // 000000006DAC: 7E7C413E
	v_exp_f32_e32 v63, v63                                     // 000000006DB0: 7E7E413F
	v_mul_f32_e32 v18, v16, v18                                // 000000006DB4: 0A242510
	v_add_f32_e32 v19, v33, v32                                // 000000006DB8: 02264121
	v_add_f32_e32 v19, v34, v19                                // 000000006DBC: 02262722
	v_add_f32_e32 v19, v35, v19                                // 000000006DC0: 02262723
	v_add_f32_e32 v19, v36, v19                                // 000000006DC4: 02262724
	v_add_f32_e32 v19, v37, v19                                // 000000006DC8: 02262725
	v_add_f32_e32 v19, v38, v19                                // 000000006DCC: 02262726
	v_add_f32_e32 v19, v39, v19                                // 000000006DD0: 02262727
	v_add_f32_e32 v19, v40, v19                                // 000000006DD4: 02262728
	v_add_f32_e32 v19, v41, v19                                // 000000006DD8: 02262729
	v_add_f32_e32 v19, v42, v19                                // 000000006DDC: 0226272A
	v_add_f32_e32 v19, v43, v19                                // 000000006DE0: 0226272B
	v_add_f32_e32 v19, v44, v19                                // 000000006DE4: 0226272C
	v_add_f32_e32 v19, v45, v19                                // 000000006DE8: 0226272D
	v_add_f32_e32 v19, v46, v19                                // 000000006DEC: 0226272E
	v_add_f32_e32 v19, v47, v19                                // 000000006DF0: 0226272F
	v_add_f32_e32 v19, v48, v19                                // 000000006DF4: 02262730
	v_add_f32_e32 v19, v49, v19                                // 000000006DF8: 02262731
	v_add_f32_e32 v19, v50, v19                                // 000000006DFC: 02262732
	v_add_f32_e32 v19, v51, v19                                // 000000006E00: 02262733
	v_add_f32_e32 v19, v52, v19                                // 000000006E04: 02262734
	v_add_f32_e32 v19, v53, v19                                // 000000006E08: 02262735
	v_add_f32_e32 v19, v54, v19                                // 000000006E0C: 02262736
	v_add_f32_e32 v19, v55, v19                                // 000000006E10: 02262737
	v_add_f32_e32 v19, v56, v19                                // 000000006E14: 02262738
	v_add_f32_e32 v19, v57, v19                                // 000000006E18: 02262739
	v_add_f32_e32 v19, v58, v19                                // 000000006E1C: 0226273A
	v_add_f32_e32 v19, v59, v19                                // 000000006E20: 0226273B
	v_add_f32_e32 v19, v60, v19                                // 000000006E24: 0226273C
	v_add_f32_e32 v19, v61, v19                                // 000000006E28: 0226273D
	v_add_f32_e32 v19, v62, v19                                // 000000006E2C: 0226273E
	v_add_f32_e32 v19, v63, v19                                // 000000006E30: 0226273F
	v_mov_b32_e32 v20, v19                                     // 000000006E34: 7E280313
	v_mul_f32_e32 v96, v16, v96                                // 000000006E38: 0AC0C110
	v_mul_f32_e32 v97, v16, v97                                // 000000006E3C: 0AC2C310
	v_permlane32_swap_b32_e32 v20, v19                         // 000000006E40: 7E28B513
	v_add_f32_e32 v20, v20, v19                                // 000000006E44: 02282714
	v_add_f32_e32 v18, v20, v18                                // 000000006E48: 02242514
	v_mul_f32_e32 v98, v16, v98                                // 000000006E4C: 0AC4C510
	v_mul_f32_e32 v99, v16, v99                                // 000000006E50: 0AC6C710
	v_mul_f32_e32 v100, v16, v100                              // 000000006E54: 0AC8C910
	v_mul_f32_e32 v101, v16, v101                              // 000000006E58: 0ACACB10
	v_mul_f32_e32 v102, v16, v102                              // 000000006E5C: 0ACCCD10
	v_mul_f32_e32 v103, v16, v103                              // 000000006E60: 0ACECF10
	v_mul_f32_e32 v104, v16, v104                              // 000000006E64: 0AD0D110
	v_mul_f32_e32 v105, v16, v105                              // 000000006E68: 0AD2D310
	v_mul_f32_e32 v106, v16, v106                              // 000000006E6C: 0AD4D510
	v_mul_f32_e32 v107, v16, v107                              // 000000006E70: 0AD6D710
	v_mul_f32_e32 v108, v16, v108                              // 000000006E74: 0AD8D910
	v_mul_f32_e32 v109, v16, v109                              // 000000006E78: 0ADADB10
	v_cvt_pk_bf16_f32 v32, v32, v33                            // 000000006E7C: D2680020 00024320
	v_cvt_pk_bf16_f32 v33, v34, v35                            // 000000006E84: D2680021 00024722
	v_cvt_pk_bf16_f32 v34, v36, v37                            // 000000006E8C: D2680022 00024B24
	v_cvt_pk_bf16_f32 v35, v38, v39                            // 000000006E94: D2680023 00024F26
	v_cvt_pk_bf16_f32 v36, v40, v41                            // 000000006E9C: D2680024 00025328
	v_cvt_pk_bf16_f32 v37, v42, v43                            // 000000006EA4: D2680025 0002572A
	v_cvt_pk_bf16_f32 v38, v44, v45                            // 000000006EAC: D2680026 00025B2C
	v_cvt_pk_bf16_f32 v39, v46, v47                            // 000000006EB4: D2680027 00025F2E
	v_cvt_pk_bf16_f32 v40, v48, v49                            // 000000006EBC: D2680028 00026330
	v_cvt_pk_bf16_f32 v41, v50, v51                            // 000000006EC4: D2680029 00026732
	v_cvt_pk_bf16_f32 v42, v52, v53                            // 000000006ECC: D268002A 00026B34
	v_cvt_pk_bf16_f32 v43, v54, v55                            // 000000006ED4: D268002B 00026F36
	v_cvt_pk_bf16_f32 v44, v56, v57                            // 000000006EDC: D268002C 00027338
	v_cvt_pk_bf16_f32 v45, v58, v59                            // 000000006EE4: D268002D 0002773A
	v_cvt_pk_bf16_f32 v46, v60, v61                            // 000000006EEC: D268002E 00027B3C
	v_cvt_pk_bf16_f32 v47, v62, v63                            // 000000006EF4: D268002F 00027F3E
	s_waitcnt lgkmcnt(0)                                       // 000000006EFC: BF8CC07F
	v_mfma_f32_32x32x16_bf16 v[96:111], v[192:195], v[32:35], v[96:111]// 000000006F00: D3B70060 058241C0
	v_mfma_f32_32x32x16_bf16 v[96:111], v[196:199], v[36:39], v[96:111]// 000000006F08: D3B70060 058249C4
	v_mfma_f32_32x32x16_bf16 v[96:111], v[200:203], v[40:43], v[96:111]// 000000006F10: D3B70060 058251C8
	v_mfma_f32_32x32x16_bf16 v[96:111], v[204:207], v[44:47], v[96:111]// 000000006F18: D3B70060 058259CC
	v_mfma_f32_32x32x16_bf16 v[112:127], v[208:211], v[32:35], v[112:127]// 000000006F20: D3B70070 05C241D0
	v_mfma_f32_32x32x16_bf16 v[112:127], v[212:215], v[36:39], v[112:127]// 000000006F28: D3B70070 05C249D4
	v_mfma_f32_32x32x16_bf16 v[112:127], v[216:219], v[40:43], v[112:127]// 000000006F30: D3B70070 05C251D8
	v_mfma_f32_32x32x16_bf16 v[112:127], v[220:223], v[44:47], v[112:127]// 000000006F38: D3B70070 05C259DC
	v_mfma_f32_32x32x16_bf16 v[128:143], v[224:227], v[32:35], v[128:143]// 000000006F40: D3B70080 060241E0
	v_mfma_f32_32x32x16_bf16 v[128:143], v[228:231], v[36:39], v[128:143]// 000000006F48: D3B70080 060249E4
	v_mfma_f32_32x32x16_bf16 v[128:143], v[232:235], v[40:43], v[128:143]// 000000006F50: D3B70080 060251E8
	v_mfma_f32_32x32x16_bf16 v[128:143], v[236:239], v[44:47], v[128:143]// 000000006F58: D3B70080 060259EC
	v_mfma_f32_32x32x16_bf16 v[144:159], v[240:243], v[32:35], v[144:159]// 000000006F60: D3B70090 064241F0
	v_mfma_f32_32x32x16_bf16 v[144:159], v[244:247], v[36:39], v[144:159]// 000000006F68: D3B70090 064249F4
	v_mfma_f32_32x32x16_bf16 v[144:159], v[248:251], v[40:43], v[144:159]// 000000006F70: D3B70090 064251F8
	v_mfma_f32_32x32x16_bf16 v[144:159], v[252:255], v[44:47], v[144:159]// 000000006F78: D3B70090 064259FC

0000000000006f80 <label_0F20>:
	v_cvt_f32_u32_e32 v12, s50                                 // 000000006F80: 7E180C32
	s_sub_i32 s40, 0, s50                                      // 000000006F84: 81A83280
	v_rcp_iflag_f32_e32 v12, v12                               // 000000006F88: 7E18470C
	s_nop 0                                                    // 000000006F8C: BF800000
	v_mul_f32_e32 v12, 0x4f7ffffe, v12                         // 000000006F90: 0A1818FF 4F7FFFFE
	v_cvt_u32_f32_e32 v12, v12                                 // 000000006F98: 7E180F0C
	v_mul_lo_u32 v13, s40, v12                                 // 000000006F9C: D285000D 00021828
	v_mul_hi_u32 v13, v12, v13                                 // 000000006FA4: D286000D 00021B0C
	v_add_u32_e32 v12, v12, v13                                // 000000006FAC: 68181B0C
	v_mul_hi_u32 v12, s59, v12                                 // 000000006FB0: D286000C 0002183B
	v_mul_lo_u32 v13, v12, s50                                 // 000000006FB8: D285000D 0000650C
	v_sub_u32_e32 v15, s59, v13                                // 000000006FC0: 6A1E1A3B
	v_add_u32_e32 v14, 1, v12                                  // 000000006FC4: 681C1881
	v_cmp_le_u32_e32 vcc, s50, v15                             // 000000006FC8: 7D961E32
	v_subrev_u32_e32 v13, s50, v15                             // 000000006FCC: 6C1A1E32
	s_nop 0                                                    // 000000006FD0: BF800000
	v_cndmask_b32_e32 v12, v12, v14, vcc                       // 000000006FD4: 00181D0C
	v_cndmask_b32_e32 v15, v15, v13, vcc                       // 000000006FD8: 001E1B0F
	v_add_u32_e32 v13, 1, v12                                  // 000000006FDC: 681A1881
	v_cmp_le_u32_e32 vcc, s50, v15                             // 000000006FE0: 7D961E32
	s_nop 1                                                    // 000000006FE4: BF800001
	v_cndmask_b32_e32 v15, v12, v13, vcc                       // 000000006FE8: 001E1B0C
	s_nop 3                                                    // 000000006FEC: BF800003
	v_readfirstlane_b32 s59, v15                               // 000000006FF0: 7E76050F
	s_nop 3                                                    // 000000006FF4: BF800003
	s_mul_i32 s59, s59, s79                                    // 000000006FF8: 923B4F3B
	v_lshrrev_b32_e32 v12, 4, v0                               // 000000006FFC: 20180084
	v_and_b32_e32 v13, 1, v12                                  // 000000007000: 261A1881
	v_mul_i32_i24_e32 v13, 32, v13                             // 000000007004: 0C1A1AA0
	v_lshrrev_b32_e32 v14, 1, v12                              // 000000007008: 201C1881
	v_mul_i32_i24_e32 v14, 16, v14                             // 00000000700C: 0C1C1C90
	v_add_u32_e32 v13, v14, v13                                // 000000007010: 681A1B0E
	v_and_b32_e32 v12, 15, v0                                  // 000000007014: 2618008F
	v_mul_i32_i24_e32 v12, s79, v12                            // 000000007018: 0C18184F
	v_add_u32_e32 v12, v13, v12                                // 00000000701C: 6818190D
	s_mul_i32 s40, s5, s79                                     // 000000007020: 92284F05
	s_mul_i32 s40, s40, 32                                     // 000000007024: 9228A028
	s_add_u32 s40, s59, s40                                    // 000000007028: 8028283B
	v_add_u32_e32 v22, s40, v12                                // 00000000702C: 682C1828
	s_mul_i32 s40, s4, 0x100                                   // 000000007030: 9228FF04 00000100
	v_and_b32_e32 v3, 31, v0                                   // 000000007038: 2606009F
	v_add_u32_e32 v3, s40, v3                                  // 00000000703C: 68060628
	s_mul_i32 s40, s5, 32                                      // 000000007040: 9228A005
	v_add_u32_e32 v3, s40, v3                                  // 000000007044: 68060628
	v_lshlrev_b32_e32 v3, 2, v3                                // 000000007048: 24060682
	v_mul_f32_e64 v12, v24, s28                                // 00000000704C: D105000C 00003918
	v_log_f32_e32 v13, v18                                     // 000000007054: 7E1A4312
	v_cmp_eq_f32_e64 s[40:41], v18, 0                          // 000000007058: D0420028 00010112
	s_nop 1                                                    // 000000007060: BF800001
	v_rcp_f32_e32 v18, v18                                     // 000000007064: 7E244512
	s_nop 1                                                    // 000000007068: BF800001
	v_cndmask_b32_e64 v18, v18, 0, s[40:41]                    // 00000000706C: D1000012 00A10112
	v_fma_f32 v2, v13, s45, v12                                // 000000007074: D1CB0002 04305B0D
	s_mul_i32 s40, s79, 16                                     // 00000000707C: 9228904F
	v_add_u32_e32 v23, s40, v22                                // 000000007080: 682E2C28
	v_mov_b32_e32 v19, v18                                     // 000000007084: 7E260312
	v_pk_mul_f32 v[96:97], v[18:19], v[96:97]                  // 000000007088: D3B14060 1802C112
	v_pk_mul_f32 v[98:99], v[18:19], v[98:99]                  // 000000007090: D3B14062 1802C512
	v_pk_mul_f32 v[100:101], v[18:19], v[100:101]              // 000000007098: D3B14064 1802C912
	v_pk_mul_f32 v[102:103], v[18:19], v[102:103]              // 0000000070A0: D3B14066 1802CD12
	v_pk_mul_f32 v[104:105], v[18:19], v[104:105]              // 0000000070A8: D3B14068 1802D112
	v_pk_mul_f32 v[106:107], v[18:19], v[106:107]              // 0000000070B0: D3B1406A 1802D512
	v_pk_mul_f32 v[108:109], v[18:19], v[108:109]              // 0000000070B8: D3B1406C 1802D912
	v_pk_mul_f32 v[110:111], v[18:19], v[110:111]              // 0000000070C0: D3B1406E 1802DD12
	v_cvt_pk_bf16_f32 v96, v96, v97                            // 0000000070C8: D2680060 0002C360
	v_cvt_pk_bf16_f32 v97, v98, v99                            // 0000000070D0: D2680061 0002C762
	v_cvt_pk_bf16_f32 v98, v100, v101                          // 0000000070D8: D2680062 0002CB64
	v_cvt_pk_bf16_f32 v99, v102, v103                          // 0000000070E0: D2680063 0002CF66
	v_nop                                                      // 0000000070E8: 7E000000
	v_permlane32_swap_b32_e32 v96, v98                         // 0000000070EC: 7EC0B562
	v_permlane32_swap_b32_e32 v97, v99                         // 0000000070F0: 7EC2B563
	v_cvt_pk_bf16_f32 v104, v104, v105                         // 0000000070F4: D2680068 0002D368
	v_cvt_pk_bf16_f32 v105, v106, v107                         // 0000000070FC: D2680069 0002D76A
	v_cvt_pk_bf16_f32 v106, v108, v109                         // 000000007104: D268006A 0002DB6C
	v_cvt_pk_bf16_f32 v107, v110, v111                         // 00000000710C: D268006B 0002DF6E
	v_nop                                                      // 000000007114: 7E000000
	v_permlane32_swap_b32_e32 v104, v106                       // 000000007118: 7ED0B56A
	v_permlane32_swap_b32_e32 v105, v107                       // 00000000711C: 7ED2B56B
	v_permlane16_swap_b32_e32 v96, v104                        // 000000007120: 7EC0B368
	v_permlane16_swap_b32_e32 v97, v105                        // 000000007124: 7EC2B369
	v_permlane16_swap_b32_e32 v98, v106                        // 000000007128: 7EC4B36A
	v_permlane16_swap_b32_e32 v99, v107                        // 00000000712C: 7EC6B36B
	buffer_store_dwordx4 v[96:99], v22, s[20:23], 0 offen      // 000000007130: E07C1000 80056016
	buffer_store_dwordx4 v[104:107], v23, s[20:23], 0 offen    // 000000007138: E07C1000 80056817
	v_pk_mul_f32 v[112:113], v[18:19], v[112:113]              // 000000007140: D3B14070 1802E112
	v_pk_mul_f32 v[114:115], v[18:19], v[114:115]              // 000000007148: D3B14072 1802E512
	v_pk_mul_f32 v[116:117], v[18:19], v[116:117]              // 000000007150: D3B14074 1802E912
	v_pk_mul_f32 v[118:119], v[18:19], v[118:119]              // 000000007158: D3B14076 1802ED12
	v_pk_mul_f32 v[120:121], v[18:19], v[120:121]              // 000000007160: D3B14078 1802F112
	v_pk_mul_f32 v[122:123], v[18:19], v[122:123]              // 000000007168: D3B1407A 1802F512
	v_pk_mul_f32 v[124:125], v[18:19], v[124:125]              // 000000007170: D3B1407C 1802F912
	v_pk_mul_f32 v[126:127], v[18:19], v[126:127]              // 000000007178: D3B1407E 1802FD12
	v_cvt_pk_bf16_f32 v112, v112, v113                         // 000000007180: D2680070 0002E370
	v_cvt_pk_bf16_f32 v113, v114, v115                         // 000000007188: D2680071 0002E772
	v_cvt_pk_bf16_f32 v114, v116, v117                         // 000000007190: D2680072 0002EB74
	v_cvt_pk_bf16_f32 v115, v118, v119                         // 000000007198: D2680073 0002EF76
	v_nop                                                      // 0000000071A0: 7E000000
	v_permlane32_swap_b32_e32 v112, v114                       // 0000000071A4: 7EE0B572
	v_permlane32_swap_b32_e32 v113, v115                       // 0000000071A8: 7EE2B573
	v_cvt_pk_bf16_f32 v120, v120, v121                         // 0000000071AC: D2680078 0002F378
	v_cvt_pk_bf16_f32 v121, v122, v123                         // 0000000071B4: D2680079 0002F77A
	v_cvt_pk_bf16_f32 v122, v124, v125                         // 0000000071BC: D268007A 0002FB7C
	v_cvt_pk_bf16_f32 v123, v126, v127                         // 0000000071C4: D268007B 0002FF7E
	v_nop                                                      // 0000000071CC: 7E000000
	v_permlane32_swap_b32_e32 v120, v122                       // 0000000071D0: 7EF0B57A
	v_permlane32_swap_b32_e32 v121, v123                       // 0000000071D4: 7EF2B57B
	v_permlane16_swap_b32_e32 v112, v120                       // 0000000071D8: 7EE0B378
	v_permlane16_swap_b32_e32 v113, v121                       // 0000000071DC: 7EE2B379
	v_permlane16_swap_b32_e32 v114, v122                       // 0000000071E0: 7EE4B37A
	v_permlane16_swap_b32_e32 v115, v123                       // 0000000071E4: 7EE6B37B
	buffer_store_dwordx4 v[112:115], v22, s[20:23], 0 offen offset:64// 0000000071E8: E07C1040 80057016
	buffer_store_dwordx4 v[120:123], v23, s[20:23], 0 offen offset:64// 0000000071F0: E07C1040 80057817
	v_pk_mul_f32 v[128:129], v[18:19], v[128:129]              // 0000000071F8: D3B14080 18030112
	v_pk_mul_f32 v[130:131], v[18:19], v[130:131]              // 000000007200: D3B14082 18030512
	v_pk_mul_f32 v[132:133], v[18:19], v[132:133]              // 000000007208: D3B14084 18030912
	v_pk_mul_f32 v[134:135], v[18:19], v[134:135]              // 000000007210: D3B14086 18030D12
	v_pk_mul_f32 v[136:137], v[18:19], v[136:137]              // 000000007218: D3B14088 18031112
	v_pk_mul_f32 v[138:139], v[18:19], v[138:139]              // 000000007220: D3B1408A 18031512
	v_pk_mul_f32 v[140:141], v[18:19], v[140:141]              // 000000007228: D3B1408C 18031912
	v_pk_mul_f32 v[142:143], v[18:19], v[142:143]              // 000000007230: D3B1408E 18031D12
	v_cvt_pk_bf16_f32 v128, v128, v129                         // 000000007238: D2680080 00030380
	v_cvt_pk_bf16_f32 v129, v130, v131                         // 000000007240: D2680081 00030782
	v_cvt_pk_bf16_f32 v130, v132, v133                         // 000000007248: D2680082 00030B84
	v_cvt_pk_bf16_f32 v131, v134, v135                         // 000000007250: D2680083 00030F86
	v_nop                                                      // 000000007258: 7E000000
	v_permlane32_swap_b32_e32 v128, v130                       // 00000000725C: 7F00B582
	v_permlane32_swap_b32_e32 v129, v131                       // 000000007260: 7F02B583
	v_cvt_pk_bf16_f32 v136, v136, v137                         // 000000007264: D2680088 00031388
	v_cvt_pk_bf16_f32 v137, v138, v139                         // 00000000726C: D2680089 0003178A
	v_cvt_pk_bf16_f32 v138, v140, v141                         // 000000007274: D268008A 00031B8C
	v_cvt_pk_bf16_f32 v139, v142, v143                         // 00000000727C: D268008B 00031F8E
	v_nop                                                      // 000000007284: 7E000000
	v_permlane32_swap_b32_e32 v136, v138                       // 000000007288: 7F10B58A
	v_permlane32_swap_b32_e32 v137, v139                       // 00000000728C: 7F12B58B
	v_permlane16_swap_b32_e32 v128, v136                       // 000000007290: 7F00B388
	v_permlane16_swap_b32_e32 v129, v137                       // 000000007294: 7F02B389
	v_permlane16_swap_b32_e32 v130, v138                       // 000000007298: 7F04B38A
	v_permlane16_swap_b32_e32 v131, v139                       // 00000000729C: 7F06B38B
	buffer_store_dwordx4 v[128:131], v22, s[20:23], 0 offen offset:128// 0000000072A0: E07C1080 80058016
	buffer_store_dwordx4 v[136:139], v23, s[20:23], 0 offen offset:128// 0000000072A8: E07C1080 80058817
	v_pk_mul_f32 v[144:145], v[18:19], v[144:145]              // 0000000072B0: D3B14090 18032112
	v_pk_mul_f32 v[146:147], v[18:19], v[146:147]              // 0000000072B8: D3B14092 18032512
	v_pk_mul_f32 v[148:149], v[18:19], v[148:149]              // 0000000072C0: D3B14094 18032912
	v_pk_mul_f32 v[150:151], v[18:19], v[150:151]              // 0000000072C8: D3B14096 18032D12
	v_pk_mul_f32 v[152:153], v[18:19], v[152:153]              // 0000000072D0: D3B14098 18033112
	v_pk_mul_f32 v[154:155], v[18:19], v[154:155]              // 0000000072D8: D3B1409A 18033512
	v_pk_mul_f32 v[156:157], v[18:19], v[156:157]              // 0000000072E0: D3B1409C 18033912
	v_pk_mul_f32 v[158:159], v[18:19], v[158:159]              // 0000000072E8: D3B1409E 18033D12
	v_cvt_pk_bf16_f32 v144, v144, v145                         // 0000000072F0: D2680090 00032390
	v_cvt_pk_bf16_f32 v145, v146, v147                         // 0000000072F8: D2680091 00032792
	v_cvt_pk_bf16_f32 v146, v148, v149                         // 000000007300: D2680092 00032B94
	v_cvt_pk_bf16_f32 v147, v150, v151                         // 000000007308: D2680093 00032F96
	v_nop                                                      // 000000007310: 7E000000
	v_permlane32_swap_b32_e32 v144, v146                       // 000000007314: 7F20B592
	v_permlane32_swap_b32_e32 v145, v147                       // 000000007318: 7F22B593
	v_cvt_pk_bf16_f32 v152, v152, v153                         // 00000000731C: D2680098 00033398
	v_cvt_pk_bf16_f32 v153, v154, v155                         // 000000007324: D2680099 0003379A
	v_cvt_pk_bf16_f32 v154, v156, v157                         // 00000000732C: D268009A 00033B9C
	v_cvt_pk_bf16_f32 v155, v158, v159                         // 000000007334: D268009B 00033F9E
	v_nop                                                      // 00000000733C: 7E000000
	v_permlane32_swap_b32_e32 v152, v154                       // 000000007340: 7F30B59A
	v_permlane32_swap_b32_e32 v153, v155                       // 000000007344: 7F32B59B
	v_permlane16_swap_b32_e32 v144, v152                       // 000000007348: 7F20B398
	v_permlane16_swap_b32_e32 v145, v153                       // 00000000734C: 7F22B399
	v_permlane16_swap_b32_e32 v146, v154                       // 000000007350: 7F24B39A
	v_permlane16_swap_b32_e32 v147, v155                       // 000000007354: 7F26B39B
	buffer_store_dwordx4 v[144:147], v22, s[20:23], 0 offen offset:192// 000000007358: E07C10C0 80059016
	buffer_store_dwordx4 v[152:155], v23, s[20:23], 0 offen offset:192// 000000007360: E07C10C0 80059817
	s_cmp_eq_u32 s56, 0                                        // 000000007368: BF068038
	s_cbranch_scc1 label_1022                                  // 00000000736C: BF850006
	v_cmp_ge_f32_e64 s[40:41], v2, v27                         // 000000007370: D0460028 00023702
	v_cndmask_b32_e64 v2, v27, v2, s[40:41]                    // 000000007378: D1000002 00A2051B
	buffer_store_dword v2, v3, s[24:27], 0 offen               // 000000007380: E0701000 80060203

0000000000007388 <label_1022>:
	s_waitcnt vmcnt(0) expcnt(0) lgkmcnt(0)                    // 000000007388: BF8C0000
	s_endpgm                                                   // 00000000738C: BF810000
